;; amdgpu-corpus repo=ROCm/rocFFT kind=compiled arch=gfx950 opt=O3
	.text
	.amdgcn_target "amdgcn-amd-amdhsa--gfx950"
	.amdhsa_code_object_version 6
	.protected	fft_rtc_back_len338_factors_13_2_13_wgs_52_tpt_26_halfLds_sp_op_CI_CI_unitstride_sbrr_R2C_dirReg ; -- Begin function fft_rtc_back_len338_factors_13_2_13_wgs_52_tpt_26_halfLds_sp_op_CI_CI_unitstride_sbrr_R2C_dirReg
	.globl	fft_rtc_back_len338_factors_13_2_13_wgs_52_tpt_26_halfLds_sp_op_CI_CI_unitstride_sbrr_R2C_dirReg
	.p2align	8
	.type	fft_rtc_back_len338_factors_13_2_13_wgs_52_tpt_26_halfLds_sp_op_CI_CI_unitstride_sbrr_R2C_dirReg,@function
fft_rtc_back_len338_factors_13_2_13_wgs_52_tpt_26_halfLds_sp_op_CI_CI_unitstride_sbrr_R2C_dirReg: ; @fft_rtc_back_len338_factors_13_2_13_wgs_52_tpt_26_halfLds_sp_op_CI_CI_unitstride_sbrr_R2C_dirReg
; %bb.0:
	s_load_dwordx4 s[4:7], s[0:1], 0x58
	s_load_dwordx4 s[8:11], s[0:1], 0x0
	;; [unrolled: 1-line block ×3, first 2 shown]
	v_mul_u32_u24_e32 v1, 0x9d9, v0
	v_lshrrev_b32_e32 v1, 16, v1
	v_lshl_add_u32 v6, s2, 1, v1
	v_mov_b32_e32 v4, 0
	s_waitcnt lgkmcnt(0)
	v_cmp_lt_u64_e64 s[2:3], s[10:11], 2
	v_mov_b32_e32 v7, v4
	s_and_b64 vcc, exec, s[2:3]
	v_mov_b64_e32 v[2:3], 0
	s_cbranch_vccnz .LBB0_8
; %bb.1:
	s_load_dwordx2 s[2:3], s[0:1], 0x10
	s_add_u32 s16, s14, 8
	s_addc_u32 s17, s15, 0
	s_add_u32 s18, s12, 8
	s_addc_u32 s19, s13, 0
	s_waitcnt lgkmcnt(0)
	s_add_u32 s20, s2, 8
	v_mov_b64_e32 v[2:3], 0
	s_addc_u32 s21, s3, 0
	s_mov_b64 s[22:23], 1
	v_mov_b64_e32 v[12:13], v[2:3]
.LBB0_2:                                ; =>This Inner Loop Header: Depth=1
	s_load_dwordx2 s[24:25], s[20:21], 0x0
                                        ; implicit-def: $vgpr14_vgpr15
	s_waitcnt lgkmcnt(0)
	v_or_b32_e32 v5, s25, v7
	v_cmp_ne_u64_e32 vcc, 0, v[4:5]
	s_and_saveexec_b64 s[2:3], vcc
	s_xor_b64 s[26:27], exec, s[2:3]
	s_cbranch_execz .LBB0_4
; %bb.3:                                ;   in Loop: Header=BB0_2 Depth=1
	v_cvt_f32_u32_e32 v5, s24
	v_cvt_f32_u32_e32 v8, s25
	s_sub_u32 s2, 0, s24
	s_subb_u32 s3, 0, s25
	v_fmac_f32_e32 v5, 0x4f800000, v8
	v_rcp_f32_e32 v5, v5
	s_nop 0
	v_mul_f32_e32 v5, 0x5f7ffffc, v5
	v_mul_f32_e32 v8, 0x2f800000, v5
	v_trunc_f32_e32 v8, v8
	v_fmac_f32_e32 v5, 0xcf800000, v8
	v_cvt_u32_f32_e32 v14, v8
	v_cvt_u32_f32_e32 v5, v5
	v_mul_lo_u32 v8, s2, v14
	v_mul_hi_u32 v10, s2, v5
	v_mul_lo_u32 v9, s3, v5
	v_add_u32_e32 v10, v10, v8
	v_mul_lo_u32 v15, s2, v5
	v_add_u32_e32 v16, v10, v9
	v_mul_hi_u32 v8, v5, v15
	v_mul_hi_u32 v11, v5, v16
	v_mul_lo_u32 v10, v5, v16
	v_mov_b32_e32 v9, v4
	v_lshl_add_u64 v[8:9], v[8:9], 0, v[10:11]
	v_mul_hi_u32 v11, v14, v15
	v_mul_lo_u32 v15, v14, v15
	v_add_co_u32_e32 v8, vcc, v8, v15
	v_mul_hi_u32 v10, v14, v16
	s_nop 0
	v_addc_co_u32_e32 v8, vcc, v9, v11, vcc
	v_mov_b32_e32 v9, v4
	s_nop 0
	v_addc_co_u32_e32 v11, vcc, 0, v10, vcc
	v_mul_lo_u32 v10, v14, v16
	v_lshl_add_u64 v[8:9], v[8:9], 0, v[10:11]
	v_add_co_u32_e32 v5, vcc, v5, v8
	v_mul_lo_u32 v10, s2, v5
	s_nop 0
	v_addc_co_u32_e32 v14, vcc, v14, v9, vcc
	v_mul_lo_u32 v8, s2, v14
	v_mul_hi_u32 v9, s2, v5
	v_add_u32_e32 v8, v9, v8
	v_mul_lo_u32 v9, s3, v5
	v_add_u32_e32 v15, v8, v9
	v_mul_hi_u32 v17, v14, v10
	v_mul_lo_u32 v18, v14, v10
	v_mul_hi_u32 v9, v5, v15
	v_mul_lo_u32 v8, v5, v15
	v_mul_hi_u32 v10, v5, v10
	v_mov_b32_e32 v11, v4
	v_lshl_add_u64 v[8:9], v[10:11], 0, v[8:9]
	v_add_co_u32_e32 v8, vcc, v8, v18
	v_mul_hi_u32 v16, v14, v15
	s_nop 0
	v_addc_co_u32_e32 v8, vcc, v9, v17, vcc
	v_mul_lo_u32 v10, v14, v15
	s_nop 0
	v_addc_co_u32_e32 v11, vcc, 0, v16, vcc
	v_mov_b32_e32 v9, v4
	v_lshl_add_u64 v[8:9], v[8:9], 0, v[10:11]
	v_add_co_u32_e32 v5, vcc, v5, v8
	v_mul_hi_u32 v10, v6, v5
	s_nop 0
	v_addc_co_u32_e32 v14, vcc, v14, v9, vcc
	v_mad_u64_u32 v[8:9], s[2:3], v6, v14, 0
	v_mov_b32_e32 v11, v4
	v_lshl_add_u64 v[8:9], v[10:11], 0, v[8:9]
	v_mad_u64_u32 v[10:11], s[2:3], v7, v14, 0
	v_mad_u64_u32 v[14:15], s[2:3], v7, v5, 0
	v_add_co_u32_e32 v5, vcc, v8, v14
	s_nop 1
	v_addc_co_u32_e32 v8, vcc, v9, v15, vcc
	v_mov_b32_e32 v9, v4
	s_nop 0
	v_addc_co_u32_e32 v11, vcc, 0, v11, vcc
	v_lshl_add_u64 v[8:9], v[8:9], 0, v[10:11]
	v_mul_lo_u32 v5, s25, v8
	v_mul_lo_u32 v14, s24, v9
	v_mad_u64_u32 v[10:11], s[2:3], s24, v8, 0
	v_add3_u32 v5, v11, v14, v5
	v_sub_u32_e32 v11, v7, v5
	v_mov_b32_e32 v14, s25
	v_sub_co_u32_e32 v16, vcc, v6, v10
	s_nop 1
	v_subb_co_u32_e64 v10, s[2:3], v11, v14, vcc
	v_subrev_co_u32_e64 v11, s[2:3], s24, v16
	v_subb_co_u32_e32 v5, vcc, v7, v5, vcc
	s_nop 0
	v_subbrev_co_u32_e64 v10, s[2:3], 0, v10, s[2:3]
	v_cmp_le_u32_e64 s[2:3], s25, v10
	v_cmp_le_u32_e32 vcc, s25, v5
	s_nop 0
	v_cndmask_b32_e64 v14, 0, -1, s[2:3]
	v_cmp_le_u32_e64 s[2:3], s24, v11
	s_nop 1
	v_cndmask_b32_e64 v11, 0, -1, s[2:3]
	v_cmp_eq_u32_e64 s[2:3], s25, v10
	s_nop 1
	v_cndmask_b32_e64 v17, v14, v11, s[2:3]
	v_lshl_add_u64 v[10:11], v[8:9], 0, 2
	v_lshl_add_u64 v[14:15], v[8:9], 0, 1
	v_cmp_ne_u32_e64 s[2:3], 0, v17
	s_nop 1
	v_cndmask_b32_e64 v11, v15, v11, s[2:3]
	v_cndmask_b32_e64 v15, 0, -1, vcc
	v_cmp_le_u32_e32 vcc, s24, v16
	s_nop 1
	v_cndmask_b32_e64 v16, 0, -1, vcc
	v_cmp_eq_u32_e32 vcc, s25, v5
	s_nop 1
	v_cndmask_b32_e32 v5, v15, v16, vcc
	v_cmp_ne_u32_e32 vcc, 0, v5
	v_cndmask_b32_e64 v5, v14, v10, s[2:3]
	s_nop 0
	v_cndmask_b32_e32 v15, v9, v11, vcc
	v_cndmask_b32_e32 v14, v8, v5, vcc
.LBB0_4:                                ;   in Loop: Header=BB0_2 Depth=1
	s_andn2_saveexec_b64 s[2:3], s[26:27]
	s_cbranch_execz .LBB0_6
; %bb.5:                                ;   in Loop: Header=BB0_2 Depth=1
	v_cvt_f32_u32_e32 v5, s24
	s_sub_i32 s26, 0, s24
	v_mov_b32_e32 v15, v4
	v_rcp_iflag_f32_e32 v5, v5
	s_nop 0
	v_mul_f32_e32 v5, 0x4f7ffffe, v5
	v_cvt_u32_f32_e32 v5, v5
	v_mul_lo_u32 v8, s26, v5
	v_mul_hi_u32 v8, v5, v8
	v_add_u32_e32 v5, v5, v8
	v_mul_hi_u32 v5, v6, v5
	v_mul_lo_u32 v8, v5, s24
	v_sub_u32_e32 v8, v6, v8
	v_add_u32_e32 v9, 1, v5
	v_subrev_u32_e32 v10, s24, v8
	v_cmp_le_u32_e32 vcc, s24, v8
	s_nop 1
	v_cndmask_b32_e32 v8, v8, v10, vcc
	v_cndmask_b32_e32 v5, v5, v9, vcc
	v_add_u32_e32 v9, 1, v5
	v_cmp_le_u32_e32 vcc, s24, v8
	s_nop 1
	v_cndmask_b32_e32 v14, v5, v9, vcc
.LBB0_6:                                ;   in Loop: Header=BB0_2 Depth=1
	s_or_b64 exec, exec, s[2:3]
	v_mad_u64_u32 v[8:9], s[2:3], v14, s24, 0
	s_load_dwordx2 s[2:3], s[18:19], 0x0
	v_mul_lo_u32 v5, v15, s24
	v_mul_lo_u32 v10, v14, s25
	s_load_dwordx2 s[24:25], s[16:17], 0x0
	s_add_u32 s22, s22, 1
	v_add3_u32 v5, v9, v10, v5
	v_sub_co_u32_e32 v6, vcc, v6, v8
	s_addc_u32 s23, s23, 0
	s_nop 0
	v_subb_co_u32_e32 v5, vcc, v7, v5, vcc
	s_add_u32 s16, s16, 8
	s_waitcnt lgkmcnt(0)
	v_mul_lo_u32 v7, s2, v5
	v_mul_lo_u32 v8, s3, v6
	v_mad_u64_u32 v[2:3], s[2:3], s2, v6, v[2:3]
	s_addc_u32 s17, s17, 0
	v_add3_u32 v3, v8, v3, v7
	v_mul_lo_u32 v5, s24, v5
	v_mul_lo_u32 v7, s25, v6
	v_mad_u64_u32 v[12:13], s[2:3], s24, v6, v[12:13]
	s_add_u32 s18, s18, 8
	v_add3_u32 v13, v7, v13, v5
	s_addc_u32 s19, s19, 0
	v_mov_b64_e32 v[6:7], s[10:11]
	s_add_u32 s20, s20, 8
	v_cmp_ge_u64_e32 vcc, s[22:23], v[6:7]
	s_addc_u32 s21, s21, 0
	s_cbranch_vccnz .LBB0_9
; %bb.7:                                ;   in Loop: Header=BB0_2 Depth=1
	v_mov_b64_e32 v[6:7], v[14:15]
	s_branch .LBB0_2
.LBB0_8:
	v_mov_b64_e32 v[12:13], v[2:3]
	v_mov_b64_e32 v[14:15], v[6:7]
.LBB0_9:
	s_load_dwordx2 s[2:3], s[0:1], 0x28
	s_lshl_b64 s[16:17], s[10:11], 3
	s_add_u32 s10, s14, s16
	v_and_b32_e32 v1, 1, v1
	s_addc_u32 s11, s15, s17
	v_cmp_eq_u32_e64 s[0:1], 1, v1
	v_mov_b32_e32 v1, 0x153
	s_waitcnt lgkmcnt(0)
	v_cmp_gt_u64_e32 vcc, s[2:3], v[14:15]
	v_cmp_le_u64_e64 s[2:3], s[2:3], v[14:15]
                                        ; implicit-def: $vgpr16
                                        ; implicit-def: $vgpr18
                                        ; implicit-def: $vgpr28
                                        ; implicit-def: $vgpr26
                                        ; implicit-def: $vgpr24
                                        ; implicit-def: $vgpr22
                                        ; implicit-def: $vgpr20
	s_and_saveexec_b64 s[14:15], s[2:3]
	s_xor_b64 s[2:3], exec, s[14:15]
; %bb.10:
	s_mov_b32 s14, 0x9d89d8a
	v_mul_hi_u32 v2, v0, s14
	v_mul_u32_u24_e32 v2, 26, v2
	v_sub_u32_e32 v16, v0, v2
	v_add_u32_e32 v18, 26, v16
	v_add_u32_e32 v28, 52, v16
	;; [unrolled: 1-line block ×6, first 2 shown]
                                        ; implicit-def: $vgpr0
                                        ; implicit-def: $vgpr2_vgpr3
; %bb.11:
	s_or_saveexec_b64 s[2:3], s[2:3]
	v_cndmask_b32_e64 v1, 0, v1, s[0:1]
	v_lshlrev_b32_e32 v23, 3, v1
	s_xor_b64 exec, exec, s[2:3]
	s_cbranch_execz .LBB0_13
; %bb.12:
	s_add_u32 s0, s12, s16
	s_addc_u32 s1, s13, s17
	s_load_dwordx2 s[0:1], s[0:1], 0x0
	s_mov_b32 s12, 0x9d89d8a
	s_waitcnt lgkmcnt(0)
	v_mul_lo_u32 v1, s1, v14
	v_mul_lo_u32 v6, s0, v15
	v_mad_u64_u32 v[4:5], s[0:1], s0, v14, 0
	v_add3_u32 v5, v5, v6, v1
	v_mul_hi_u32 v1, v0, s12
	v_mul_u32_u24_e32 v1, 26, v1
	v_sub_u32_e32 v16, v0, v1
	v_lshl_add_u64 v[0:1], v[4:5], 3, s[4:5]
	v_lshl_add_u64 v[0:1], v[2:3], 3, v[0:1]
	v_lshlrev_b32_e32 v2, 3, v16
	v_mov_b32_e32 v3, 0
	v_lshl_add_u64 v[0:1], v[0:1], 0, v[2:3]
	global_load_dwordx2 v[4:5], v[0:1], off
	global_load_dwordx2 v[6:7], v[0:1], off offset:208
	global_load_dwordx2 v[8:9], v[0:1], off offset:416
	;; [unrolled: 1-line block ×12, first 2 shown]
	v_add_u32_e32 v18, 26, v16
	v_add_u32_e32 v28, 52, v16
	;; [unrolled: 1-line block ×6, first 2 shown]
	v_add3_u32 v0, 0, v23, v2
	v_add_u32_e32 v1, 0x800, v0
	s_waitcnt vmcnt(11)
	ds_write2_b64 v0, v[4:5], v[6:7] offset1:26
	s_waitcnt vmcnt(9)
	ds_write2_b64 v0, v[8:9], v[10:11] offset0:52 offset1:78
	s_waitcnt vmcnt(7)
	ds_write2_b64 v0, v[30:31], v[32:33] offset0:104 offset1:130
	;; [unrolled: 2-line block ×5, first 2 shown]
	s_waitcnt vmcnt(0)
	ds_write_b64 v0, v[46:47] offset:2496
.LBB0_13:
	s_or_b64 exec, exec, s[2:3]
	v_add_u32_e32 v104, 0, v23
	v_lshlrev_b32_e32 v17, 3, v16
	v_add_u32_e32 v21, v104, v17
	v_add3_u32 v19, 0, v17, v23
	s_load_dwordx2 s[4:5], s[10:11], 0x0
	s_waitcnt lgkmcnt(0)
	; wave barrier
	s_waitcnt lgkmcnt(0)
	ds_read_b64 v[0:1], v21
	ds_read2_b64 v[2:5], v19 offset0:78 offset1:104
	ds_read2_b64 v[42:45], v19 offset0:130 offset1:156
	v_add_u32_e32 v25, 0x800, v19
	ds_read2_b64 v[32:35], v19 offset0:26 offset1:52
	ds_read2_b64 v[54:57], v25 offset0:30 offset1:56
	;; [unrolled: 1-line block ×3, first 2 shown]
	v_add_u32_e32 v6, 0x400, v19
	ds_read2_b64 v[58:61], v6 offset0:106 offset1:132
	s_waitcnt lgkmcnt(3)
	v_pk_add_f32 v[6:7], v[0:1], v[32:33]
	s_mov_b32 s12, 0xbeedf032
	v_pk_add_f32 v[6:7], v[6:7], v[34:35]
	s_waitcnt lgkmcnt(2)
	v_pk_add_f32 v[8:9], v[56:57], v[32:33]
	v_pk_add_f32 v[6:7], v[6:7], v[2:3]
	v_pk_add_f32 v[10:11], v[32:33], v[56:57] neg_lo:[0,1] neg_hi:[0,1]
	v_pk_add_f32 v[6:7], v[6:7], v[4:5]
	s_mov_b32 s13, 0x3f62ad3f
	v_pk_add_f32 v[6:7], v[6:7], v[42:43]
	s_mov_b32 s10, s13
	;; [unrolled: 2-line block ×3, first 2 shown]
	s_waitcnt lgkmcnt(1)
	v_pk_add_f32 v[6:7], v[6:7], v[48:49]
	s_mov_b32 s2, 0xbf52af12
	v_pk_add_f32 v[6:7], v[6:7], v[50:51]
	v_pk_add_f32 v[30:31], v[54:55], v[34:35]
	s_waitcnt lgkmcnt(0)
	v_pk_add_f32 v[6:7], v[6:7], v[58:59]
	v_pk_add_f32 v[32:33], v[34:35], v[54:55] neg_lo:[0,1] neg_hi:[0,1]
	v_pk_add_f32 v[6:7], v[6:7], v[60:61]
	v_pk_add_f32 v[36:37], v[50:51], v[42:43]
	;; [unrolled: 1-line block ×3, first 2 shown]
	v_pk_add_f32 v[40:41], v[42:43], v[50:51] neg_lo:[0,1] neg_hi:[0,1]
	v_pk_add_f32 v[74:75], v[6:7], v[56:57]
	v_mov_b32_e32 v6, v8
	v_mov_b32_e32 v7, v10
	v_pk_add_f32 v[34:35], v[48:49], v[44:45]
	v_pk_add_f32 v[38:39], v[44:45], v[48:49] neg_lo:[0,1] neg_hi:[0,1]
	v_mov_b32_e32 v44, v11
	v_mov_b32_e32 v45, v9
	v_pk_mul_f32 v[50:51], v[6:7], s[10:11]
	s_mov_b32 s0, 0x3f116cb1
	v_pk_mul_f32 v[62:63], v[10:11], s[2:3] op_sel_hi:[1,0]
	v_pk_fma_f32 v[6:7], v[44:45], s[12:13], v[50:51] neg_lo:[1,0,0] neg_hi:[1,0,0]
	v_pk_fma_f32 v[54:55], v[44:45], s[12:13], v[50:51]
	v_pk_fma_f32 v[44:45], v[44:45], s[12:13], v[50:51] neg_lo:[0,0,1] neg_hi:[0,0,1]
	v_pk_add_f32 v[46:47], v[60:61], v[2:3]
	v_pk_add_f32 v[52:53], v[2:3], v[60:61] neg_lo:[0,1] neg_hi:[0,1]
	v_pk_add_f32 v[42:43], v[58:59], v[4:5]
	v_pk_add_f32 v[48:49], v[4:5], v[58:59] neg_lo:[0,1] neg_hi:[0,1]
	v_pk_fma_f32 v[4:5], v[8:9], s[0:1], v[62:63] op_sel:[0,0,1] op_sel_hi:[1,0,0]
	v_pk_fma_f32 v[2:3], v[8:9], s[0:1], v[62:63] op_sel:[0,0,1] op_sel_hi:[1,0,0] neg_lo:[0,0,1] neg_hi:[0,0,1]
	v_mov_b32_e32 v7, v55
	v_mov_b32_e32 v55, v45
	;; [unrolled: 1-line block ×4, first 2 shown]
	s_mov_b32 s1, s2
	v_mov_b32_e32 v50, v33
	v_mov_b32_e32 v51, v31
	s_mov_b32 s3, s0
	v_pk_mul_f32 v[44:45], v[44:45], s[0:1]
	s_mov_b32 s12, 0x3f7e222b
	v_pk_fma_f32 v[56:57], v[50:51], s[2:3], v[44:45] neg_lo:[1,0,0] neg_hi:[1,0,0]
	v_pk_fma_f32 v[58:59], v[50:51], s[2:3], v[44:45]
	v_pk_fma_f32 v[44:45], v[50:51], s[2:3], v[44:45] neg_lo:[0,0,1] neg_hi:[0,0,1]
	v_mov_b32_e32 v57, v59
	v_mov_b32_e32 v59, v45
	v_pk_add_f32 v[44:45], v[0:1], v[54:55]
	s_mov_b32 s10, 0x3df6dbef
	v_pk_add_f32 v[54:55], v[58:59], v[44:45]
	v_pk_mul_f32 v[44:45], v[40:41], s[12:13] op_sel_hi:[1,0]
	s_mov_b32 s26, 0xbf7e222b
	v_pk_fma_f32 v[50:51], v[36:37], s[10:11], v[44:45] op_sel:[0,0,1] op_sel_hi:[1,0,0]
	v_pk_fma_f32 v[44:45], v[36:37], s[10:11], v[44:45] op_sel:[0,0,1] op_sel_hi:[1,0,0] neg_lo:[0,0,1] neg_hi:[0,0,1]
	v_mov_b32_e32 v60, v46
	v_mov_b32_e32 v61, v52
	s_mov_b32 s11, s26
	v_mov_b32_e32 v58, v53
	v_mov_b32_e32 v59, v47
	s_mov_b32 s27, s10
	v_pk_mul_f32 v[60:61], v[60:61], s[10:11]
	s_mov_b32 s16, 0xbf6f5d39
	v_pk_fma_f32 v[64:65], v[58:59], s[26:27], v[60:61] neg_lo:[1,0,0] neg_hi:[1,0,0]
	v_pk_fma_f32 v[62:63], v[58:59], s[26:27], v[60:61]
	v_pk_fma_f32 v[58:59], v[58:59], s[26:27], v[60:61] neg_lo:[0,0,1] neg_hi:[0,0,1]
	v_mov_b32_e32 v65, v63
	v_mov_b32_e32 v63, v59
	v_pk_add_f32 v[60:61], v[62:63], v[54:55]
	s_mov_b32 s14, 0xbeb58ec6
	v_pk_mul_f32 v[54:55], v[32:33], s[16:17] op_sel_hi:[1,0]
	v_mov_b32_e32 v66, v42
	v_pk_fma_f32 v[58:59], v[30:31], s[14:15], v[54:55] op_sel:[0,0,1] op_sel_hi:[1,0,0]
	v_pk_fma_f32 v[54:55], v[30:31], s[14:15], v[54:55] op_sel:[0,0,1] op_sel_hi:[1,0,0] neg_lo:[0,0,1] neg_hi:[0,0,1]
	v_mov_b32_e32 v67, v48
	s_mov_b32 s15, s16
	v_mov_b32_e32 v62, v49
	v_mov_b32_e32 v63, v43
	s_mov_b32 s17, s14
	v_pk_mul_f32 v[66:67], v[66:67], s[14:15]
	s_mov_b32 s34, 0x3f29c268
	v_pk_fma_f32 v[68:69], v[62:63], s[16:17], v[66:67] neg_lo:[1,0,0] neg_hi:[1,0,0]
	v_pk_fma_f32 v[70:71], v[62:63], s[16:17], v[66:67]
	v_pk_fma_f32 v[62:63], v[62:63], s[16:17], v[66:67] neg_lo:[0,0,1] neg_hi:[0,0,1]
	v_mov_b32_e32 v69, v71
	v_mov_b32_e32 v71, v63
	v_pk_add_f32 v[66:67], v[70:71], v[60:61]
	s_mov_b32 s18, 0xbf3f9e67
	v_pk_mul_f32 v[60:61], v[48:49], s[34:35] op_sel_hi:[1,0]
	s_mov_b32 s20, 0xbf29c268
	v_pk_fma_f32 v[62:63], v[42:43], s[18:19], v[60:61] op_sel:[0,0,1] op_sel_hi:[1,0,0]
	v_pk_fma_f32 v[60:61], v[42:43], s[18:19], v[60:61] op_sel:[0,0,1] op_sel_hi:[1,0,0] neg_lo:[0,0,1] neg_hi:[0,0,1]
	v_mov_b32_e32 v72, v36
	v_mov_b32_e32 v73, v40
	s_mov_b32 s19, s20
	v_mov_b32_e32 v70, v41
	v_mov_b32_e32 v71, v37
	s_mov_b32 s21, s18
	v_pk_mul_f32 v[76:77], v[72:73], s[18:19]
	s_mov_b32 s24, 0xbe750f2a
	v_pk_fma_f32 v[72:73], v[70:71], s[20:21], v[76:77] neg_lo:[1,0,0] neg_hi:[1,0,0]
	v_pk_fma_f32 v[78:79], v[70:71], s[20:21], v[76:77]
	v_pk_fma_f32 v[70:71], v[70:71], s[20:21], v[76:77] neg_lo:[0,0,1] neg_hi:[0,0,1]
	v_mov_b32_e32 v73, v79
	v_mov_b32_e32 v79, v71
	v_pk_add_f32 v[76:77], v[78:79], v[66:67]
	s_mov_b32 s22, 0xbf788fa5
	v_pk_mul_f32 v[66:67], v[52:53], s[24:25] op_sel_hi:[1,0]
	v_mov_b32_e32 v78, v34
	v_pk_fma_f32 v[70:71], v[46:47], s[22:23], v[66:67] op_sel:[0,0,1] op_sel_hi:[1,0,0]
	v_pk_fma_f32 v[66:67], v[46:47], s[22:23], v[66:67] op_sel:[0,0,1] op_sel_hi:[1,0,0] neg_lo:[0,0,1] neg_hi:[0,0,1]
	v_mov_b32_e32 v79, v38
	s_mov_b32 s23, s24
	v_mov_b32_e32 v80, v39
	v_mov_b32_e32 v81, v35
	s_mov_b32 s25, s22
	v_pk_mul_f32 v[82:83], v[78:79], s[22:23]
	s_movk_i32 s1, 0x60
	v_pk_fma_f32 v[78:79], v[80:81], s[24:25], v[82:83] neg_lo:[1,0,0] neg_hi:[1,0,0]
	v_pk_fma_f32 v[84:85], v[80:81], s[24:25], v[82:83]
	v_pk_fma_f32 v[80:81], v[80:81], s[24:25], v[82:83] neg_lo:[0,0,1] neg_hi:[0,0,1]
	v_mov_b32_e32 v79, v85
	v_mov_b32_e32 v85, v81
	v_pk_add_f32 v[76:77], v[84:85], v[76:77]
	v_mad_u32_u24 v27, v16, s1, v19
	s_waitcnt lgkmcnt(0)
	; wave barrier
	ds_write2_b64 v27, v[74:75], v[76:77] offset1:1
	v_mov_b32_e32 v74, v4
	v_mov_b32_e32 v75, v3
	;; [unrolled: 1-line block ×4, first 2 shown]
	v_pk_add_f32 v[74:75], v[0:1], v[74:75]
	s_mov_b32 s30, 0x3eedf032
	v_pk_add_f32 v[74:75], v[76:77], v[74:75]
	v_mov_b32_e32 v76, v70
	v_mov_b32_e32 v77, v67
	v_pk_add_f32 v[74:75], v[76:77], v[74:75]
	v_mov_b32_e32 v76, v62
	v_mov_b32_e32 v77, v61
	;; [unrolled: 3-line block ×3, first 2 shown]
	v_pk_add_f32 v[80:81], v[76:77], v[74:75]
	s_mov_b32 s28, s13
	v_pk_mul_f32 v[76:77], v[38:39], s[30:31] op_sel_hi:[1,0]
	s_mov_b32 s36, 0x3f6f5d39
	v_pk_fma_f32 v[74:75], v[34:35], s[28:29], v[76:77] op_sel:[0,0,1] op_sel_hi:[1,0,0]
	v_pk_fma_f32 v[76:77], v[34:35], s[28:29], v[76:77] op_sel:[0,0,1] op_sel_hi:[1,0,0] neg_lo:[0,0,1] neg_hi:[0,0,1]
	v_mov_b32_e32 v82, v74
	v_mov_b32_e32 v83, v77
	v_pk_add_f32 v[106:107], v[82:83], v[80:81]
	v_pk_mul_f32 v[80:81], v[10:11], s[26:27] op_sel_hi:[1,0]
	v_pk_mul_f32 v[82:83], v[32:33], s[24:25] op_sel_hi:[1,0]
	v_pk_fma_f32 v[84:85], v[8:9], s[10:11], v[80:81] op_sel:[0,0,1] op_sel_hi:[1,0,0]
	v_pk_fma_f32 v[80:81], v[8:9], s[10:11], v[80:81] op_sel:[0,0,1] op_sel_hi:[1,0,0] neg_lo:[0,0,1] neg_hi:[0,0,1]
	v_mov_b32_e32 v88, v84
	v_mov_b32_e32 v89, v81
	v_pk_fma_f32 v[86:87], v[30:31], s[22:23], v[82:83] op_sel:[0,0,1] op_sel_hi:[1,0,0]
	v_pk_fma_f32 v[82:83], v[30:31], s[22:23], v[82:83] op_sel:[0,0,1] op_sel_hi:[1,0,0] neg_lo:[0,0,1] neg_hi:[0,0,1]
	v_mov_b32_e32 v90, v86
	v_mov_b32_e32 v91, v83
	v_pk_add_f32 v[88:89], v[0:1], v[88:89]
	v_pk_mul_f32 v[112:113], v[32:33], s[34:35] op_sel_hi:[1,0]
	v_pk_add_f32 v[90:91], v[90:91], v[88:89]
	v_pk_mul_f32 v[88:89], v[52:53], s[36:37] op_sel_hi:[1,0]
	v_pk_fma_f32 v[114:115], v[30:31], s[18:19], v[112:113] op_sel:[0,0,1] op_sel_hi:[1,0,0]
	v_pk_fma_f32 v[92:93], v[46:47], s[14:15], v[88:89] op_sel:[0,0,1] op_sel_hi:[1,0,0]
	v_pk_fma_f32 v[88:89], v[46:47], s[14:15], v[88:89] op_sel:[0,0,1] op_sel_hi:[1,0,0] neg_lo:[0,0,1] neg_hi:[0,0,1]
	v_mov_b32_e32 v94, v92
	v_mov_b32_e32 v95, v89
	v_pk_add_f32 v[96:97], v[94:95], v[90:91]
	v_pk_mul_f32 v[90:91], v[48:49], s[30:31] op_sel_hi:[1,0]
	v_pk_fma_f32 v[112:113], v[30:31], s[18:19], v[112:113] op_sel:[0,0,1] op_sel_hi:[1,0,0] neg_lo:[0,0,1] neg_hi:[0,0,1]
	v_pk_fma_f32 v[94:95], v[42:43], s[28:29], v[90:91] op_sel:[0,0,1] op_sel_hi:[1,0,0]
	v_pk_fma_f32 v[90:91], v[42:43], s[28:29], v[90:91] op_sel:[0,0,1] op_sel_hi:[1,0,0] neg_lo:[0,0,1] neg_hi:[0,0,1]
	v_mov_b32_e32 v98, v94
	v_mov_b32_e32 v99, v91
	v_pk_add_f32 v[100:101], v[98:99], v[96:97]
	v_pk_mul_f32 v[96:97], v[40:41], s[2:3] op_sel_hi:[1,0]
	v_mov_b32_e32 v116, v114
	v_pk_fma_f32 v[98:99], v[36:37], s[0:1], v[96:97] op_sel:[0,0,1] op_sel_hi:[1,0,0]
	v_pk_fma_f32 v[96:97], v[36:37], s[0:1], v[96:97] op_sel:[0,0,1] op_sel_hi:[1,0,0] neg_lo:[0,0,1] neg_hi:[0,0,1]
	v_mov_b32_e32 v102, v98
	v_mov_b32_e32 v103, v97
	v_pk_add_f32 v[108:109], v[102:103], v[100:101]
	v_pk_mul_f32 v[102:103], v[38:39], s[20:21] op_sel_hi:[1,0]
	v_mov_b32_e32 v117, v113
	v_pk_fma_f32 v[100:101], v[34:35], s[18:19], v[102:103] op_sel:[0,0,1] op_sel_hi:[1,0,0]
	v_pk_fma_f32 v[102:103], v[34:35], s[18:19], v[102:103] op_sel:[0,0,1] op_sel_hi:[1,0,0] neg_lo:[0,0,1] neg_hi:[0,0,1]
	v_mov_b32_e32 v110, v100
	v_mov_b32_e32 v111, v103
	v_pk_add_f32 v[108:109], v[110:111], v[108:109]
	ds_write2_b64 v27, v[106:107], v[108:109] offset0:2 offset1:3
	v_pk_mul_f32 v[106:107], v[10:11], s[16:17] op_sel_hi:[1,0]
	s_mov_b32 s34, 0x3f52af12
	v_pk_fma_f32 v[108:109], v[8:9], s[14:15], v[106:107] op_sel:[0,0,1] op_sel_hi:[1,0,0]
	v_pk_fma_f32 v[106:107], v[8:9], s[14:15], v[106:107] op_sel:[0,0,1] op_sel_hi:[1,0,0] neg_lo:[0,0,1] neg_hi:[0,0,1]
	v_mov_b32_e32 v110, v108
	v_mov_b32_e32 v111, v107
	v_pk_add_f32 v[110:111], v[0:1], v[110:111]
	v_pk_mul_f32 v[138:139], v[32:33], s[12:13] op_sel_hi:[1,0]
	v_pk_add_f32 v[110:111], v[116:117], v[110:111]
	v_pk_mul_f32 v[116:117], v[52:53], s[30:31] op_sel_hi:[1,0]
	v_pk_fma_f32 v[140:141], v[30:31], s[10:11], v[138:139] op_sel:[0,0,1] op_sel_hi:[1,0,0]
	v_pk_fma_f32 v[118:119], v[46:47], s[28:29], v[116:117] op_sel:[0,0,1] op_sel_hi:[1,0,0]
	v_pk_fma_f32 v[116:117], v[46:47], s[28:29], v[116:117] op_sel:[0,0,1] op_sel_hi:[1,0,0] neg_lo:[0,0,1] neg_hi:[0,0,1]
	v_mov_b32_e32 v120, v118
	v_mov_b32_e32 v121, v117
	v_pk_add_f32 v[110:111], v[120:121], v[110:111]
	v_pk_mul_f32 v[120:121], v[48:49], s[26:27] op_sel_hi:[1,0]
	s_mov_b32 s26, 0x3e750f2a
	v_pk_fma_f32 v[122:123], v[42:43], s[10:11], v[120:121] op_sel:[0,0,1] op_sel_hi:[1,0,0]
	v_pk_fma_f32 v[120:121], v[42:43], s[10:11], v[120:121] op_sel:[0,0,1] op_sel_hi:[1,0,0] neg_lo:[0,0,1] neg_hi:[0,0,1]
	v_mov_b32_e32 v124, v122
	v_mov_b32_e32 v125, v121
	v_pk_add_f32 v[110:111], v[124:125], v[110:111]
	v_pk_mul_f32 v[124:125], v[40:41], s[26:27] op_sel_hi:[1,0]
	v_pk_fma_f32 v[138:139], v[30:31], s[10:11], v[138:139] op_sel:[0,0,1] op_sel_hi:[1,0,0] neg_lo:[0,0,1] neg_hi:[0,0,1]
	v_pk_fma_f32 v[126:127], v[36:37], s[22:23], v[124:125] op_sel:[0,0,1] op_sel_hi:[1,0,0]
	v_pk_fma_f32 v[124:125], v[36:37], s[22:23], v[124:125] op_sel:[0,0,1] op_sel_hi:[1,0,0] neg_lo:[0,0,1] neg_hi:[0,0,1]
	v_mov_b32_e32 v128, v126
	v_mov_b32_e32 v129, v125
	v_pk_add_f32 v[110:111], v[128:129], v[110:111]
	v_pk_mul_f32 v[128:129], v[38:39], s[34:35] op_sel_hi:[1,0]
	v_mov_b32_e32 v142, v140
	v_pk_fma_f32 v[130:131], v[34:35], s[0:1], v[128:129] op_sel:[0,0,1] op_sel_hi:[1,0,0]
	v_pk_fma_f32 v[128:129], v[34:35], s[0:1], v[128:129] op_sel:[0,0,1] op_sel_hi:[1,0,0] neg_lo:[0,0,1] neg_hi:[0,0,1]
	v_mov_b32_e32 v132, v130
	v_mov_b32_e32 v133, v129
	v_pk_add_f32 v[110:111], v[132:133], v[110:111]
	v_pk_mul_f32 v[132:133], v[10:11], s[20:21] op_sel_hi:[1,0]
	v_mov_b32_e32 v143, v139
	v_pk_fma_f32 v[134:135], v[8:9], s[18:19], v[132:133] op_sel:[0,0,1] op_sel_hi:[1,0,0]
	v_pk_fma_f32 v[132:133], v[8:9], s[18:19], v[132:133] op_sel:[0,0,1] op_sel_hi:[1,0,0] neg_lo:[0,0,1] neg_hi:[0,0,1]
	v_mov_b32_e32 v136, v134
	v_mov_b32_e32 v137, v133
	v_pk_add_f32 v[136:137], v[0:1], v[136:137]
	v_pk_mul_f32 v[10:11], v[10:11], s[24:25] op_sel_hi:[1,0]
	v_pk_add_f32 v[136:137], v[142:143], v[136:137]
	v_pk_mul_f32 v[142:143], v[52:53], s[2:3] op_sel_hi:[1,0]
	v_pk_add_f32 v[6:7], v[0:1], v[6:7]
	v_pk_fma_f32 v[144:145], v[46:47], s[0:1], v[142:143] op_sel:[0,0,1] op_sel_hi:[1,0,0]
	v_pk_fma_f32 v[142:143], v[46:47], s[0:1], v[142:143] op_sel:[0,0,1] op_sel_hi:[1,0,0] neg_lo:[0,0,1] neg_hi:[0,0,1]
	v_mov_b32_e32 v146, v144
	v_mov_b32_e32 v147, v143
	v_pk_add_f32 v[136:137], v[146:147], v[136:137]
	v_pk_mul_f32 v[146:147], v[48:49], s[26:27] op_sel_hi:[1,0]
	v_pk_add_f32 v[6:7], v[56:57], v[6:7]
	v_pk_fma_f32 v[148:149], v[42:43], s[22:23], v[146:147] op_sel:[0,0,1] op_sel_hi:[1,0,0]
	v_pk_fma_f32 v[146:147], v[42:43], s[22:23], v[146:147] op_sel:[0,0,1] op_sel_hi:[1,0,0] neg_lo:[0,0,1] neg_hi:[0,0,1]
	v_mov_b32_e32 v150, v148
	v_mov_b32_e32 v151, v147
	v_pk_add_f32 v[136:137], v[150:151], v[136:137]
	v_pk_mul_f32 v[150:151], v[40:41], s[30:31] op_sel_hi:[1,0]
	v_pk_mul_f32 v[40:41], v[40:41], s[16:17] op_sel_hi:[1,0]
	v_pk_fma_f32 v[152:153], v[36:37], s[28:29], v[150:151] op_sel:[0,0,1] op_sel_hi:[1,0,0]
	v_pk_fma_f32 v[150:151], v[36:37], s[28:29], v[150:151] op_sel:[0,0,1] op_sel_hi:[1,0,0] neg_lo:[0,0,1] neg_hi:[0,0,1]
	v_mov_b32_e32 v154, v152
	v_mov_b32_e32 v155, v151
	v_pk_add_f32 v[136:137], v[154:155], v[136:137]
	v_pk_mul_f32 v[154:155], v[38:39], s[16:17] op_sel_hi:[1,0]
	v_pk_mul_f32 v[38:39], v[38:39], s[12:13] op_sel_hi:[1,0]
	v_pk_fma_f32 v[156:157], v[34:35], s[14:15], v[154:155] op_sel:[0,0,1] op_sel_hi:[1,0,0]
	v_pk_fma_f32 v[154:155], v[34:35], s[14:15], v[154:155] op_sel:[0,0,1] op_sel_hi:[1,0,0] neg_lo:[0,0,1] neg_hi:[0,0,1]
	v_mov_b32_e32 v158, v156
	v_mov_b32_e32 v159, v155
	v_pk_add_f32 v[136:137], v[158:159], v[136:137]
	ds_write2_b64 v27, v[110:111], v[136:137] offset0:4 offset1:5
	v_pk_fma_f32 v[110:111], v[8:9], s[22:23], v[10:11] op_sel:[0,0,1] op_sel_hi:[1,0,0]
	v_pk_fma_f32 v[8:9], v[8:9], s[22:23], v[10:11] op_sel:[0,0,1] op_sel_hi:[1,0,0] neg_lo:[0,0,1] neg_hi:[0,0,1]
	v_pk_mul_f32 v[10:11], v[32:33], s[30:31] op_sel_hi:[1,0]
	v_pk_add_f32 v[6:7], v[64:65], v[6:7]
	v_pk_fma_f32 v[32:33], v[30:31], s[28:29], v[10:11] op_sel:[0,0,1] op_sel_hi:[1,0,0]
	v_pk_fma_f32 v[10:11], v[30:31], s[28:29], v[10:11] op_sel:[0,0,1] op_sel_hi:[1,0,0] neg_lo:[0,0,1] neg_hi:[0,0,1]
	v_pk_mul_f32 v[30:31], v[52:53], s[20:21] op_sel_hi:[1,0]
	v_mov_b32_e32 v136, v32
	v_pk_fma_f32 v[52:53], v[46:47], s[18:19], v[30:31] op_sel:[0,0,1] op_sel_hi:[1,0,0]
	v_pk_fma_f32 v[30:31], v[46:47], s[18:19], v[30:31] op_sel:[0,0,1] op_sel_hi:[1,0,0] neg_lo:[0,0,1] neg_hi:[0,0,1]
	v_pk_mul_f32 v[46:47], v[48:49], s[34:35] op_sel_hi:[1,0]
	v_mov_b32_e32 v137, v11
	v_pk_fma_f32 v[48:49], v[42:43], s[0:1], v[46:47] op_sel:[0,0,1] op_sel_hi:[1,0,0]
	v_pk_fma_f32 v[42:43], v[42:43], s[0:1], v[46:47] op_sel:[0,0,1] op_sel_hi:[1,0,0] neg_lo:[0,0,1] neg_hi:[0,0,1]
	v_pk_fma_f32 v[46:47], v[36:37], s[14:15], v[40:41] op_sel:[0,0,1] op_sel_hi:[1,0,0]
	v_pk_fma_f32 v[36:37], v[36:37], s[14:15], v[40:41] op_sel:[0,0,1] op_sel_hi:[1,0,0] neg_lo:[0,0,1] neg_hi:[0,0,1]
	v_mov_b32_e32 v40, v110
	v_mov_b32_e32 v41, v9
	v_pk_add_f32 v[40:41], v[0:1], v[40:41]
	v_mov_b32_e32 v9, v111
	v_pk_add_f32 v[40:41], v[136:137], v[40:41]
	v_mov_b32_e32 v136, v52
	v_mov_b32_e32 v137, v31
	v_mov_b32_e32 v11, v33
	v_pk_add_f32 v[8:9], v[0:1], v[8:9]
	v_pk_add_f32 v[40:41], v[136:137], v[40:41]
	v_mov_b32_e32 v136, v48
	v_mov_b32_e32 v137, v43
	v_mov_b32_e32 v31, v53
	v_pk_add_f32 v[8:9], v[10:11], v[8:9]
	;; [unrolled: 5-line block ×3, first 2 shown]
	v_pk_add_f32 v[40:41], v[136:137], v[40:41]
	v_pk_fma_f32 v[136:137], v[34:35], s[10:11], v[38:39] op_sel:[0,0,1] op_sel_hi:[1,0,0]
	v_pk_fma_f32 v[34:35], v[34:35], s[10:11], v[38:39] op_sel:[0,0,1] op_sel_hi:[1,0,0] neg_lo:[0,0,1] neg_hi:[0,0,1]
	v_mov_b32_e32 v37, v47
	v_pk_add_f32 v[8:9], v[42:43], v[8:9]
	v_mov_b32_e32 v38, v136
	v_mov_b32_e32 v39, v35
	v_pk_add_f32 v[8:9], v[36:37], v[8:9]
	v_mov_b32_e32 v35, v137
	v_pk_add_f32 v[6:7], v[68:69], v[6:7]
	v_pk_add_f32 v[38:39], v[38:39], v[40:41]
	;; [unrolled: 1-line block ×3, first 2 shown]
	v_mov_b32_e32 v133, v135
	v_mov_b32_e32 v107, v109
	v_pk_add_f32 v[6:7], v[72:73], v[6:7]
	v_mov_b32_e32 v81, v85
	v_mov_b32_e32 v3, v5
	ds_write2_b64 v27, v[38:39], v[8:9] offset0:6 offset1:7
	v_mov_b32_e32 v139, v141
	v_pk_add_f32 v[8:9], v[0:1], v[132:133]
	v_mov_b32_e32 v113, v115
	v_pk_add_f32 v[10:11], v[0:1], v[106:107]
	v_pk_add_f32 v[30:31], v[78:79], v[6:7]
	v_mov_b32_e32 v83, v87
	v_pk_add_f32 v[6:7], v[0:1], v[80:81]
	v_mov_b32_e32 v55, v59
	;; [unrolled: 2-line block ×14, first 2 shown]
	v_pk_add_f32 v[0:1], v[60:61], v[0:1]
	v_pk_add_f32 v[8:9], v[150:151], v[8:9]
	v_mov_b32_e32 v155, v157
	v_pk_add_f32 v[10:11], v[124:125], v[10:11]
	v_mov_b32_e32 v129, v131
	v_pk_add_f32 v[6:7], v[96:97], v[6:7]
	v_mov_b32_e32 v103, v101
	v_pk_add_f32 v[0:1], v[44:45], v[0:1]
	v_mov_b32_e32 v77, v75
	v_pk_add_f32 v[8:9], v[154:155], v[8:9]
	v_pk_add_f32 v[10:11], v[128:129], v[10:11]
	;; [unrolled: 1-line block ×4, first 2 shown]
	ds_write2_b64 v27, v[8:9], v[10:11] offset0:8 offset1:9
	ds_write2_b64 v27, v[6:7], v[0:1] offset0:10 offset1:11
	ds_write_b64 v27, v[30:31] offset:96
	s_waitcnt lgkmcnt(0)
	; wave barrier
	s_waitcnt lgkmcnt(0)
	ds_read2_b64 v[0:3], v19 offset0:169 offset1:195
	v_lshl_add_u32 v68, v18, 3, v104
	v_lshl_add_u32 v67, v28, 3, v104
	ds_read2_b64 v[4:7], v19 offset0:221 offset1:247
	v_lshl_add_u32 v66, v26, 3, v104
	ds_read_b64 v[34:35], v21
	ds_read_b64 v[36:37], v68
	;; [unrolled: 1-line block ×4, first 2 shown]
	v_lshl_add_u32 v65, v24, 3, v104
	ds_read2_b64 v[8:11], v25 offset0:17 offset1:43
	v_lshl_add_u32 v64, v22, 3, v104
	ds_read_b64 v[42:43], v65
	ds_read_b64 v[44:45], v64
	v_cmp_gt_u32_e64 s[0:1], 13, v16
	v_lshlrev_b32_e32 v25, 3, v20
                                        ; implicit-def: $vgpr33
	s_and_saveexec_b64 s[2:3], s[0:1]
	s_cbranch_execz .LBB0_15
; %bb.14:
	v_add3_u32 v27, 0, v25, v23
	ds_read_b64 v[30:31], v27
	ds_read_b64 v[32:33], v19 offset:2600
.LBB0_15:
	s_or_b64 exec, exec, s[2:3]
	v_add_u32_e32 v27, -13, v16
	s_movk_i32 s10, 0x4f
	v_cndmask_b32_e64 v46, v27, v16, s[0:1]
	v_mul_lo_u16_sdwa v27, v18, s10 dst_sel:DWORD dst_unused:UNUSED_PAD src0_sel:BYTE_0 src1_sel:DWORD
	v_lshrrev_b16_e32 v29, 10, v27
	v_mov_b32_e32 v47, 0
	v_mul_lo_u16_e32 v27, 13, v29
	v_lshl_add_u64 v[48:49], v[46:47], 3, s[8:9]
	v_sub_u16_e32 v47, v18, v27
	v_mul_lo_u16_sdwa v27, v28, s10 dst_sel:DWORD dst_unused:UNUSED_PAD src0_sel:BYTE_0 src1_sel:DWORD
	v_lshrrev_b16_e32 v62, 10, v27
	v_mul_lo_u16_e32 v27, 13, v62
	v_sub_u16_e32 v50, v28, v27
	v_mul_lo_u16_sdwa v27, v26, s10 dst_sel:DWORD dst_unused:UNUSED_PAD src0_sel:BYTE_0 src1_sel:DWORD
	v_lshrrev_b16_e32 v63, 10, v27
	v_mul_lo_u16_e32 v27, 13, v63
	;; [unrolled: 4-line block ×4, first 2 shown]
	v_sub_u16_e32 v53, v22, v27
	v_mov_b32_e32 v27, 3
	v_lshlrev_b32_sdwa v74, v27, v53 dst_sel:DWORD dst_unused:UNUSED_PAD src0_sel:DWORD src1_sel:BYTE_0
	v_lshlrev_b32_sdwa v47, v27, v47 dst_sel:DWORD dst_unused:UNUSED_PAD src0_sel:DWORD src1_sel:BYTE_0
	;; [unrolled: 1-line block ×5, first 2 shown]
	global_load_dwordx2 v[50:51], v74, s[8:9]
	global_load_dwordx2 v[52:53], v73, s[8:9]
	;; [unrolled: 1-line block ×5, first 2 shown]
	global_load_dwordx2 v[60:61], v[48:49], off
	v_mov_b32_e32 v48, 0xd0
	v_cmp_lt_u32_e64 s[2:3], 12, v16
	s_movk_i32 s11, 0xd0
	v_lshlrev_b32_e32 v46, 3, v46
	v_cndmask_b32_e64 v48, 0, v48, s[2:3]
	v_add_u32_e32 v48, 0, v48
	v_add3_u32 v78, v48, v46, v23
	v_mad_u32_u24 v29, v29, s11, 0
	v_mad_u32_u24 v46, v62, s11, 0
	v_mad_u32_u24 v48, v63, s11, 0
	v_mad_u32_u24 v49, v69, s11, 0
	v_mad_u32_u24 v62, v70, s11, 0
	v_add3_u32 v29, v29, v47, v23
	v_add3_u32 v69, v46, v71, v23
	;; [unrolled: 1-line block ×5, first 2 shown]
	s_waitcnt lgkmcnt(0)
	; wave barrier
	s_waitcnt vmcnt(5) lgkmcnt(0)
	v_pk_mul_f32 v[46:47], v[50:51], v[10:11] op_sel:[0,1]
	s_waitcnt vmcnt(4)
	v_pk_mul_f32 v[48:49], v[52:53], v[8:9] op_sel:[0,1]
	s_waitcnt vmcnt(3)
	;; [unrolled: 2-line block ×5, first 2 shown]
	v_pk_mul_f32 v[74:75], v[60:61], v[0:1] op_sel:[0,1]
	v_pk_fma_f32 v[76:77], v[50:51], v[10:11], v[46:47] op_sel:[0,0,1] op_sel_hi:[1,1,0]
	v_pk_fma_f32 v[10:11], v[50:51], v[10:11], v[46:47] op_sel:[0,0,1] op_sel_hi:[1,0,0] neg_lo:[1,0,0] neg_hi:[1,0,0]
	v_pk_fma_f32 v[46:47], v[52:53], v[8:9], v[48:49] op_sel:[0,0,1] op_sel_hi:[1,1,0]
	v_pk_fma_f32 v[8:9], v[52:53], v[8:9], v[48:49] op_sel:[0,0,1] op_sel_hi:[1,0,0] neg_lo:[1,0,0] neg_hi:[1,0,0]
	;; [unrolled: 2-line block ×6, first 2 shown]
	v_mov_b32_e32 v55, v1
	v_mov_b32_e32 v77, v11
	;; [unrolled: 1-line block ×6, first 2 shown]
	v_pk_add_f32 v[10:11], v[34:35], v[54:55] neg_lo:[0,1] neg_hi:[0,1]
	v_pk_add_f32 v[0:1], v[44:45], v[76:77] neg_lo:[0,1] neg_hi:[0,1]
	;; [unrolled: 1-line block ×6, first 2 shown]
	v_pk_fma_f32 v[34:35], v[34:35], 2.0, v[10:11] op_sel_hi:[1,0,1] neg_lo:[0,0,1] neg_hi:[0,0,1]
	v_pk_fma_f32 v[44:45], v[44:45], 2.0, v[0:1] op_sel_hi:[1,0,1] neg_lo:[0,0,1] neg_hi:[0,0,1]
	v_pk_fma_f32 v[42:43], v[42:43], 2.0, v[2:3] op_sel_hi:[1,0,1] neg_lo:[0,0,1] neg_hi:[0,0,1]
	v_pk_fma_f32 v[40:41], v[40:41], 2.0, v[4:5] op_sel_hi:[1,0,1] neg_lo:[0,0,1] neg_hi:[0,0,1]
	v_pk_fma_f32 v[38:39], v[38:39], 2.0, v[6:7] op_sel_hi:[1,0,1] neg_lo:[0,0,1] neg_hi:[0,0,1]
	v_pk_fma_f32 v[36:37], v[36:37], 2.0, v[8:9] op_sel_hi:[1,0,1] neg_lo:[0,0,1] neg_hi:[0,0,1]
	ds_write2_b64 v78, v[34:35], v[10:11] offset1:13
	ds_write2_b64 v29, v[36:37], v[8:9] offset1:13
	;; [unrolled: 1-line block ×6, first 2 shown]
	s_and_saveexec_b64 s[2:3], s[0:1]
	s_cbranch_execz .LBB0_17
; %bb.16:
	v_mul_lo_u16_sdwa v0, v20, s10 dst_sel:DWORD dst_unused:UNUSED_PAD src0_sel:BYTE_0 src1_sel:DWORD
	v_lshrrev_b16_e32 v0, 10, v0
	v_mul_lo_u16_e32 v0, 13, v0
	v_sub_u16_e32 v0, v20, v0
	v_lshlrev_b32_sdwa v3, v27, v0 dst_sel:DWORD dst_unused:UNUSED_PAD src0_sel:DWORD src1_sel:BYTE_0
	global_load_dwordx2 v[0:1], v3, s[8:9]
	v_mov_b32_e32 v2, v33
	v_add3_u32 v6, 0, v3, v23
	s_waitcnt vmcnt(0)
	v_pk_mul_f32 v[2:3], v[2:3], v[0:1] op_sel_hi:[0,1]
	v_pk_fma_f32 v[4:5], v[32:33], v[0:1], v[2:3] op_sel:[0,0,1] op_sel_hi:[1,1,0]
	v_pk_fma_f32 v[0:1], v[32:33], v[0:1], v[2:3] op_sel:[0,0,1] op_sel_hi:[0,1,0] neg_lo:[1,0,0] neg_hi:[1,0,0]
	v_mov_b32_e32 v5, v1
	v_pk_add_f32 v[0:1], v[30:31], v[4:5] neg_lo:[0,1] neg_hi:[0,1]
	v_add_u32_e32 v4, 0x800, v6
	v_pk_fma_f32 v[2:3], v[30:31], 2.0, v[0:1] op_sel_hi:[1,0,1] neg_lo:[0,0,1] neg_hi:[0,0,1]
	ds_write2_b64 v4, v[2:3], v[0:1] offset0:56 offset1:69
.LBB0_17:
	s_or_b64 exec, exec, s[2:3]
	v_mul_u32_u24_e32 v0, 12, v16
	v_lshlrev_b32_e32 v0, 3, v0
	s_waitcnt lgkmcnt(0)
	; wave barrier
	s_waitcnt lgkmcnt(0)
	global_load_dwordx4 v[2:5], v0, s[8:9] offset:120
	global_load_dwordx4 v[6:9], v0, s[8:9] offset:136
	;; [unrolled: 1-line block ×6, first 2 shown]
	ds_read_b64 v[0:1], v21
	ds_read_b64 v[10:11], v68
	;; [unrolled: 1-line block ×4, first 2 shown]
	ds_read2_b64 v[46:49], v19 offset0:182 offset1:208
	v_add3_u32 v25, 0, v25, v23
	s_waitcnt lgkmcnt(3)
	v_mov_b32_e32 v76, v11
	v_add_u32_e32 v27, 0x400, v19
	v_add_u32_e32 v23, 0x800, v19
	ds_read_b64 v[62:63], v65
	ds_read_b64 v[70:71], v64
	;; [unrolled: 1-line block ×3, first 2 shown]
	ds_read2_b64 v[50:53], v27 offset0:106 offset1:132
	ds_read2_b64 v[54:57], v23 offset0:30 offset1:56
	s_waitcnt lgkmcnt(4)
	v_mov_b32_e32 v74, v63
	s_mov_b32 s10, 0xbeedf032
	s_mov_b32 s2, 0x3f62ad3f
	;; [unrolled: 1-line block ×7, first 2 shown]
	s_waitcnt lgkmcnt(0)
	; wave barrier
	s_waitcnt lgkmcnt(0)
	s_mov_b32 s36, 0x3f29c268
	s_mov_b32 s28, 0x3f7e222b
	;; [unrolled: 1-line block ×4, first 2 shown]
	s_waitcnt vmcnt(5)
	v_pk_mul_f32 v[100:101], v[2:3], v[60:61] op_sel:[0,1]
	v_mov_b32_e32 v78, v5
	v_mov_b32_e32 v79, v4
	v_pk_mul_f32 v[4:5], v[4:5], v[62:63] op_sel_hi:[1,0]
	s_waitcnt vmcnt(4)
	v_pk_mul_f32 v[80:81], v[70:71], v[6:7] op_sel:[0,1]
	s_waitcnt vmcnt(0)
	v_pk_mul_f32 v[96:97], v[42:43], v[10:11] op_sel_hi:[1,0]
	v_pk_mul_f32 v[98:99], v[44:45], v[58:59] op_sel:[0,1]
	v_pk_fma_f32 v[76:77], v[42:43], v[76:77], v[96:97] op_sel:[1,0,0] op_sel_hi:[0,1,1]
	v_pk_fma_f32 v[10:11], v[42:43], v[10:11], v[96:97] op_sel:[1,1,0] op_sel_hi:[0,1,1] neg_lo:[0,0,1] neg_hi:[0,0,1]
	v_pk_fma_f32 v[42:43], v[44:45], v[58:59], v[98:99] op_sel:[0,0,1] op_sel_hi:[1,1,0]
	v_pk_fma_f32 v[44:45], v[44:45], v[58:59], v[98:99] op_sel:[0,0,1] op_sel_hi:[1,0,0] neg_lo:[1,0,0] neg_hi:[1,0,0]
	v_pk_fma_f32 v[58:59], v[2:3], v[60:61], v[100:101] op_sel:[0,0,1] op_sel_hi:[1,1,0]
	v_pk_fma_f32 v[2:3], v[2:3], v[60:61], v[100:101] op_sel:[0,0,1] op_sel_hi:[1,0,0] neg_lo:[1,0,0] neg_hi:[1,0,0]
	v_mov_b32_e32 v77, v11
	v_mov_b32_e32 v82, v9
	v_pk_mul_f32 v[84:85], v[46:47], v[30:31] op_sel:[0,1]
	v_mov_b32_e32 v86, v33
	v_mov_b32_e32 v43, v45
	;; [unrolled: 1-line block ×3, first 2 shown]
	v_pk_add_f32 v[2:3], v[76:77], v[0:1]
	v_pk_fma_f32 v[74:75], v[78:79], v[74:75], v[4:5]
	v_pk_fma_f32 v[4:5], v[78:79], v[62:63], v[4:5] op_sel:[0,1,0] neg_lo:[0,0,1] neg_hi:[0,0,1]
	v_pk_fma_f32 v[62:63], v[70:71], v[6:7], v[80:81] op_sel:[0,0,1] op_sel_hi:[1,1,0]
	v_pk_fma_f32 v[6:7], v[70:71], v[6:7], v[80:81] op_sel:[0,0,1] op_sel_hi:[1,0,0] neg_lo:[0,0,1] neg_hi:[0,0,1]
	v_pk_mul_f32 v[70:71], v[72:73], v[82:83] op_sel_hi:[1,0]
	v_pk_fma_f32 v[78:79], v[46:47], v[30:31], v[84:85] op_sel:[0,0,1] op_sel_hi:[1,1,0]
	v_pk_fma_f32 v[30:31], v[46:47], v[30:31], v[84:85] op_sel:[0,0,1] op_sel_hi:[1,0,0] neg_lo:[0,0,1] neg_hi:[0,0,1]
	v_pk_mul_f32 v[46:47], v[48:49], v[86:87] op_sel_hi:[1,0]
	v_pk_add_f32 v[2:3], v[2:3], v[42:43]
	v_mov_b32_e32 v75, v5
	v_mov_b32_e32 v63, v7
	v_pk_fma_f32 v[60:61], v[72:73], v[8:9], v[70:71] op_sel:[0,0,1] op_sel_hi:[1,1,0]
	v_pk_fma_f32 v[4:5], v[72:73], v[8:9], v[70:71] op_sel:[0,0,1] op_sel_hi:[1,0,0] neg_lo:[0,0,1] neg_hi:[0,0,1]
	v_pk_fma_f32 v[70:71], v[48:49], v[32:33], v[46:47] op_sel:[0,0,1] op_sel_hi:[1,1,0]
	v_pk_fma_f32 v[6:7], v[48:49], v[32:33], v[46:47] op_sel:[0,0,1] op_sel_hi:[1,0,0] neg_lo:[0,0,1] neg_hi:[0,0,1]
	v_pk_add_f32 v[2:3], v[2:3], v[58:59]
	v_mov_b32_e32 v71, v7
	v_pk_add_f32 v[6:7], v[2:3], v[74:75]
	v_pk_mul_f32 v[88:89], v[50:51], v[34:35] op_sel:[0,1]
	v_pk_mul_f32 v[92:93], v[54:55], v[38:39] op_sel:[0,1]
	v_mov_b32_e32 v94, v41
	v_mov_b32_e32 v61, v5
	v_pk_add_f32 v[6:7], v[6:7], v[62:63]
	v_mov_b32_e32 v90, v37
	v_pk_fma_f32 v[80:81], v[50:51], v[34:35], v[88:89] op_sel:[0,0,1] op_sel_hi:[1,1,0]
	v_pk_fma_f32 v[34:35], v[50:51], v[34:35], v[88:89] op_sel:[0,0,1] op_sel_hi:[1,0,0] neg_lo:[0,0,1] neg_hi:[0,0,1]
	v_pk_fma_f32 v[82:83], v[54:55], v[38:39], v[92:93] op_sel:[0,0,1] op_sel_hi:[1,1,0]
	v_pk_fma_f32 v[38:39], v[54:55], v[38:39], v[92:93] op_sel:[0,0,1] op_sel_hi:[1,0,0] neg_lo:[0,0,1] neg_hi:[0,0,1]
	v_pk_mul_f32 v[54:55], v[56:57], v[94:95] op_sel_hi:[1,0]
	v_mov_b32_e32 v79, v31
	v_pk_add_f32 v[6:7], v[6:7], v[60:61]
	v_pk_mul_f32 v[50:51], v[52:53], v[90:91] op_sel_hi:[1,0]
	v_mov_b32_e32 v81, v35
	v_pk_fma_f32 v[32:33], v[56:57], v[40:41], v[54:55] op_sel:[0,0,1] op_sel_hi:[1,1,0]
	v_pk_fma_f32 v[34:35], v[56:57], v[40:41], v[54:55] op_sel:[0,0,1] op_sel_hi:[1,0,0] neg_lo:[0,0,1] neg_hi:[0,0,1]
	v_pk_add_f32 v[6:7], v[6:7], v[78:79]
	v_pk_fma_f32 v[30:31], v[52:53], v[36:37], v[50:51] op_sel:[0,0,1] op_sel_hi:[1,1,0]
	v_pk_fma_f32 v[8:9], v[52:53], v[36:37], v[50:51] op_sel:[0,0,1] op_sel_hi:[1,0,0] neg_lo:[0,0,1] neg_hi:[0,0,1]
	v_mov_b32_e32 v33, v35
	v_pk_add_f32 v[6:7], v[6:7], v[70:71]
	v_mov_b32_e32 v31, v9
	v_pk_add_f32 v[72:73], v[76:77], v[32:33]
	v_pk_add_f32 v[76:77], v[76:77], v[32:33] neg_lo:[0,1] neg_hi:[0,1]
	v_pk_add_f32 v[6:7], v[6:7], v[80:81]
	v_mov_b32_e32 v83, v39
	v_pk_mul_f32 v[4:5], v[76:77], s[10:11] op_sel_hi:[1,0]
	v_pk_add_f32 v[6:7], v[6:7], v[30:31]
	v_pk_fma_f32 v[2:3], v[72:73], s[2:3], v[4:5] op_sel:[0,0,1] op_sel_hi:[1,0,0]
	v_pk_add_f32 v[6:7], v[6:7], v[82:83]
	v_pk_fma_f32 v[4:5], v[72:73], s[2:3], v[4:5] op_sel:[0,0,1] op_sel_hi:[1,0,0] neg_lo:[0,0,1] neg_hi:[0,0,1]
	v_pk_add_f32 v[84:85], v[42:43], v[82:83]
	v_pk_add_f32 v[82:83], v[42:43], v[82:83] neg_lo:[0,1] neg_hi:[0,1]
	v_pk_add_f32 v[44:45], v[6:7], v[32:33]
	v_mov_b32_e32 v6, v2
	v_mov_b32_e32 v7, v5
	s_mov_b32 s10, 0x3f116cb1
	v_pk_mul_f32 v[8:9], v[82:83], s[22:23] op_sel_hi:[1,0]
	v_pk_add_f32 v[10:11], v[6:7], v[0:1]
	v_pk_fma_f32 v[6:7], v[84:85], s[10:11], v[8:9] op_sel:[0,0,1] op_sel_hi:[1,0,0]
	v_pk_fma_f32 v[8:9], v[84:85], s[10:11], v[8:9] op_sel:[0,0,1] op_sel_hi:[1,0,0] neg_lo:[0,0,1] neg_hi:[0,0,1]
	v_pk_add_f32 v[88:89], v[58:59], v[30:31] neg_lo:[0,1] neg_hi:[0,1]
	v_mov_b32_e32 v32, v6
	v_mov_b32_e32 v33, v9
	v_pk_add_f32 v[86:87], v[58:59], v[30:31]
	v_pk_mul_f32 v[30:31], v[88:89], s[30:31] op_sel_hi:[1,0]
	v_pk_add_f32 v[32:33], v[32:33], v[10:11]
	v_pk_fma_f32 v[10:11], v[86:87], s[12:13], v[30:31] op_sel:[0,0,1] op_sel_hi:[1,0,0]
	v_pk_fma_f32 v[30:31], v[86:87], s[12:13], v[30:31] op_sel:[0,0,1] op_sel_hi:[1,0,0] neg_lo:[0,0,1] neg_hi:[0,0,1]
	v_mov_b32_e32 v34, v10
	v_mov_b32_e32 v35, v31
	v_pk_add_f32 v[90:91], v[74:75], v[80:81]
	v_pk_add_f32 v[74:75], v[74:75], v[80:81] neg_lo:[0,1] neg_hi:[0,1]
	v_pk_add_f32 v[36:37], v[34:35], v[32:33]
	v_pk_mul_f32 v[34:35], v[74:75], s[16:17] op_sel_hi:[1,0]
	v_pk_add_f32 v[80:81], v[62:63], v[70:71]
	v_pk_fma_f32 v[32:33], v[90:91], s[14:15], v[34:35] op_sel:[0,0,1] op_sel_hi:[1,0,0]
	v_pk_fma_f32 v[34:35], v[90:91], s[14:15], v[34:35] op_sel:[0,0,1] op_sel_hi:[1,0,0] neg_lo:[0,0,1] neg_hi:[0,0,1]
	v_mov_b32_e32 v38, v32
	v_mov_b32_e32 v39, v35
	v_pk_add_f32 v[70:71], v[62:63], v[70:71] neg_lo:[0,1] neg_hi:[0,1]
	v_pk_add_f32 v[40:41], v[38:39], v[36:37]
	v_pk_mul_f32 v[38:39], v[70:71], s[20:21] op_sel_hi:[1,0]
	v_pk_add_f32 v[92:93], v[60:61], v[78:79]
	v_pk_fma_f32 v[36:37], v[80:81], s[18:19], v[38:39] op_sel:[0,0,1] op_sel_hi:[1,0,0]
	v_pk_fma_f32 v[38:39], v[80:81], s[18:19], v[38:39] op_sel:[0,0,1] op_sel_hi:[1,0,0] neg_lo:[0,0,1] neg_hi:[0,0,1]
	v_mov_b32_e32 v42, v36
	v_mov_b32_e32 v43, v39
	v_pk_add_f32 v[78:79], v[60:61], v[78:79] neg_lo:[0,1] neg_hi:[0,1]
	v_pk_add_f32 v[46:47], v[42:43], v[40:41]
	v_pk_mul_f32 v[42:43], v[78:79], s[26:27] op_sel_hi:[1,0]
	v_pk_mul_f32 v[50:51], v[82:83], s[16:17] op_sel_hi:[1,0]
	v_pk_fma_f32 v[40:41], v[92:93], s[24:25], v[42:43] op_sel:[0,0,1] op_sel_hi:[1,0,0]
	v_pk_fma_f32 v[42:43], v[92:93], s[24:25], v[42:43] op_sel:[0,0,1] op_sel_hi:[1,0,0] neg_lo:[0,0,1] neg_hi:[0,0,1]
	v_mov_b32_e32 v48, v40
	v_mov_b32_e32 v49, v43
	v_pk_add_f32 v[46:47], v[48:49], v[46:47]
	ds_write2_b64 v19, v[44:45], v[46:47] offset1:26
	v_pk_mul_f32 v[46:47], v[76:77], s[22:23] op_sel_hi:[1,0]
	v_pk_mul_f32 v[108:109], v[82:83], s[26:27] op_sel_hi:[1,0]
	v_pk_fma_f32 v[44:45], v[72:73], s[10:11], v[46:47] op_sel:[0,0,1] op_sel_hi:[1,0,0]
	v_pk_fma_f32 v[46:47], v[72:73], s[10:11], v[46:47] op_sel:[0,0,1] op_sel_hi:[1,0,0] neg_lo:[0,0,1] neg_hi:[0,0,1]
	v_mov_b32_e32 v48, v44
	v_mov_b32_e32 v49, v47
	v_pk_add_f32 v[52:53], v[48:49], v[0:1]
	v_pk_fma_f32 v[48:49], v[84:85], s[14:15], v[50:51] op_sel:[0,0,1] op_sel_hi:[1,0,0]
	v_pk_fma_f32 v[50:51], v[84:85], s[14:15], v[50:51] op_sel:[0,0,1] op_sel_hi:[1,0,0] neg_lo:[0,0,1] neg_hi:[0,0,1]
	v_mov_b32_e32 v54, v48
	v_mov_b32_e32 v55, v51
	v_pk_add_f32 v[56:57], v[54:55], v[52:53]
	v_pk_mul_f32 v[54:55], v[88:89], s[26:27] op_sel_hi:[1,0]
	v_pk_fma_f32 v[110:111], v[84:85], s[24:25], v[108:109] op_sel:[0,0,1] op_sel_hi:[1,0,0]
	v_pk_fma_f32 v[52:53], v[86:87], s[24:25], v[54:55] op_sel:[0,0,1] op_sel_hi:[1,0,0]
	v_pk_fma_f32 v[54:55], v[86:87], s[24:25], v[54:55] op_sel:[0,0,1] op_sel_hi:[1,0,0] neg_lo:[0,0,1] neg_hi:[0,0,1]
	v_mov_b32_e32 v58, v52
	v_mov_b32_e32 v59, v55
	v_pk_add_f32 v[60:61], v[58:59], v[56:57]
	v_pk_mul_f32 v[58:59], v[74:75], s[36:37] op_sel_hi:[1,0]
	v_pk_fma_f32 v[108:109], v[84:85], s[24:25], v[108:109] op_sel:[0,0,1] op_sel_hi:[1,0,0] neg_lo:[0,0,1] neg_hi:[0,0,1]
	v_pk_fma_f32 v[56:57], v[90:91], s[18:19], v[58:59] op_sel:[0,0,1] op_sel_hi:[1,0,0]
	v_pk_fma_f32 v[58:59], v[90:91], s[18:19], v[58:59] op_sel:[0,0,1] op_sel_hi:[1,0,0] neg_lo:[0,0,1] neg_hi:[0,0,1]
	v_mov_b32_e32 v62, v56
	v_mov_b32_e32 v63, v59
	v_pk_add_f32 v[94:95], v[62:63], v[60:61]
	v_pk_mul_f32 v[62:63], v[70:71], s[28:29] op_sel_hi:[1,0]
	v_mov_b32_e32 v112, v110
	v_pk_fma_f32 v[60:61], v[80:81], s[12:13], v[62:63] op_sel:[0,0,1] op_sel_hi:[1,0,0]
	v_pk_fma_f32 v[62:63], v[80:81], s[12:13], v[62:63] op_sel:[0,0,1] op_sel_hi:[1,0,0] neg_lo:[0,0,1] neg_hi:[0,0,1]
	v_mov_b32_e32 v96, v60
	v_mov_b32_e32 v97, v63
	v_pk_add_f32 v[94:95], v[96:97], v[94:95]
	v_pk_mul_f32 v[96:97], v[78:79], s[34:35] op_sel_hi:[1,0]
	v_mov_b32_e32 v113, v109
	v_pk_fma_f32 v[98:99], v[92:93], s[2:3], v[96:97] op_sel:[0,0,1] op_sel_hi:[1,0,0]
	v_pk_fma_f32 v[96:97], v[92:93], s[2:3], v[96:97] op_sel:[0,0,1] op_sel_hi:[1,0,0] neg_lo:[0,0,1] neg_hi:[0,0,1]
	v_mov_b32_e32 v100, v98
	v_mov_b32_e32 v101, v97
	v_pk_add_f32 v[94:95], v[100:101], v[94:95]
	v_pk_mul_f32 v[100:101], v[76:77], s[30:31] op_sel_hi:[1,0]
	v_pk_mul_f32 v[130:131], v[82:83], s[36:37] op_sel_hi:[1,0]
	v_pk_fma_f32 v[102:103], v[72:73], s[12:13], v[100:101] op_sel:[0,0,1] op_sel_hi:[1,0,0]
	v_pk_fma_f32 v[100:101], v[72:73], s[12:13], v[100:101] op_sel:[0,0,1] op_sel_hi:[1,0,0] neg_lo:[0,0,1] neg_hi:[0,0,1]
	v_mov_b32_e32 v106, v102
	v_mov_b32_e32 v107, v101
	v_pk_add_f32 v[106:107], v[106:107], v[0:1]
	v_pk_fma_f32 v[132:133], v[84:85], s[18:19], v[130:131] op_sel:[0,0,1] op_sel_hi:[1,0,0]
	v_pk_add_f32 v[106:107], v[112:113], v[106:107]
	v_pk_mul_f32 v[112:113], v[88:89], s[38:39] op_sel_hi:[1,0]
	v_pk_fma_f32 v[130:131], v[84:85], s[18:19], v[130:131] op_sel:[0,0,1] op_sel_hi:[1,0,0] neg_lo:[0,0,1] neg_hi:[0,0,1]
	v_pk_fma_f32 v[114:115], v[86:87], s[14:15], v[112:113] op_sel:[0,0,1] op_sel_hi:[1,0,0]
	v_pk_fma_f32 v[112:113], v[86:87], s[14:15], v[112:113] op_sel:[0,0,1] op_sel_hi:[1,0,0] neg_lo:[0,0,1] neg_hi:[0,0,1]
	v_mov_b32_e32 v116, v114
	v_mov_b32_e32 v117, v113
	v_pk_add_f32 v[106:107], v[116:117], v[106:107]
	v_pk_mul_f32 v[116:117], v[74:75], s[34:35] op_sel_hi:[1,0]
	v_mov_b32_e32 v134, v132
	v_pk_fma_f32 v[118:119], v[90:91], s[2:3], v[116:117] op_sel:[0,0,1] op_sel_hi:[1,0,0]
	v_pk_fma_f32 v[116:117], v[90:91], s[2:3], v[116:117] op_sel:[0,0,1] op_sel_hi:[1,0,0] neg_lo:[0,0,1] neg_hi:[0,0,1]
	v_mov_b32_e32 v120, v118
	v_mov_b32_e32 v121, v117
	v_pk_add_f32 v[106:107], v[120:121], v[106:107]
	v_pk_mul_f32 v[120:121], v[70:71], s[22:23] op_sel_hi:[1,0]
	v_mov_b32_e32 v135, v131
	v_pk_fma_f32 v[122:123], v[80:81], s[10:11], v[120:121] op_sel:[0,0,1] op_sel_hi:[1,0,0]
	v_pk_fma_f32 v[120:121], v[80:81], s[10:11], v[120:121] op_sel:[0,0,1] op_sel_hi:[1,0,0] neg_lo:[0,0,1] neg_hi:[0,0,1]
	v_mov_b32_e32 v124, v122
	v_mov_b32_e32 v125, v121
	v_pk_add_f32 v[106:107], v[124:125], v[106:107]
	v_pk_mul_f32 v[124:125], v[78:79], s[20:21] op_sel_hi:[1,0]
	s_mov_b32 s36, 0x3f52af12
	v_pk_fma_f32 v[126:127], v[92:93], s[18:19], v[124:125] op_sel:[0,0,1] op_sel_hi:[1,0,0]
	v_pk_fma_f32 v[124:125], v[92:93], s[18:19], v[124:125] op_sel:[0,0,1] op_sel_hi:[1,0,0] neg_lo:[0,0,1] neg_hi:[0,0,1]
	v_mov_b32_e32 v128, v126
	v_mov_b32_e32 v129, v125
	v_pk_add_f32 v[106:107], v[128:129], v[106:107]
	ds_write2_b64 v19, v[94:95], v[106:107] offset0:52 offset1:78
	v_pk_mul_f32 v[94:95], v[76:77], s[16:17] op_sel_hi:[1,0]
	v_pk_mul_f32 v[156:157], v[82:83], s[28:29] op_sel_hi:[1,0]
	v_pk_fma_f32 v[106:107], v[72:73], s[14:15], v[94:95] op_sel:[0,0,1] op_sel_hi:[1,0,0]
	v_pk_fma_f32 v[94:95], v[72:73], s[14:15], v[94:95] op_sel:[0,0,1] op_sel_hi:[1,0,0] neg_lo:[0,0,1] neg_hi:[0,0,1]
	v_mov_b32_e32 v128, v106
	v_mov_b32_e32 v129, v95
	v_pk_add_f32 v[128:129], v[128:129], v[0:1]
	v_pk_fma_f32 v[158:159], v[84:85], s[12:13], v[156:157] op_sel:[0,0,1] op_sel_hi:[1,0,0]
	v_pk_add_f32 v[128:129], v[134:135], v[128:129]
	v_pk_mul_f32 v[134:135], v[88:89], s[34:35] op_sel_hi:[1,0]
	v_pk_fma_f32 v[156:157], v[84:85], s[12:13], v[156:157] op_sel:[0,0,1] op_sel_hi:[1,0,0] neg_lo:[0,0,1] neg_hi:[0,0,1]
	v_pk_fma_f32 v[136:137], v[86:87], s[2:3], v[134:135] op_sel:[0,0,1] op_sel_hi:[1,0,0]
	v_pk_fma_f32 v[134:135], v[86:87], s[2:3], v[134:135] op_sel:[0,0,1] op_sel_hi:[1,0,0] neg_lo:[0,0,1] neg_hi:[0,0,1]
	v_mov_b32_e32 v138, v136
	v_mov_b32_e32 v139, v135
	v_pk_add_f32 v[128:129], v[138:139], v[128:129]
	v_pk_mul_f32 v[138:139], v[74:75], s[30:31] op_sel_hi:[1,0]
	s_mov_b32 s30, 0x3e750f2a
	v_pk_fma_f32 v[140:141], v[90:91], s[12:13], v[138:139] op_sel:[0,0,1] op_sel_hi:[1,0,0]
	v_pk_fma_f32 v[138:139], v[90:91], s[12:13], v[138:139] op_sel:[0,0,1] op_sel_hi:[1,0,0] neg_lo:[0,0,1] neg_hi:[0,0,1]
	v_mov_b32_e32 v142, v140
	v_mov_b32_e32 v143, v139
	v_pk_add_f32 v[128:129], v[142:143], v[128:129]
	v_pk_mul_f32 v[142:143], v[70:71], s[30:31] op_sel_hi:[1,0]
	v_mov_b32_e32 v160, v158
	v_pk_fma_f32 v[144:145], v[80:81], s[24:25], v[142:143] op_sel:[0,0,1] op_sel_hi:[1,0,0]
	v_pk_fma_f32 v[142:143], v[80:81], s[24:25], v[142:143] op_sel:[0,0,1] op_sel_hi:[1,0,0] neg_lo:[0,0,1] neg_hi:[0,0,1]
	v_mov_b32_e32 v146, v144
	v_mov_b32_e32 v147, v143
	v_pk_add_f32 v[128:129], v[146:147], v[128:129]
	v_pk_mul_f32 v[146:147], v[78:79], s[36:37] op_sel_hi:[1,0]
	v_mov_b32_e32 v161, v157
	v_pk_fma_f32 v[148:149], v[92:93], s[10:11], v[146:147] op_sel:[0,0,1] op_sel_hi:[1,0,0]
	v_pk_fma_f32 v[146:147], v[92:93], s[10:11], v[146:147] op_sel:[0,0,1] op_sel_hi:[1,0,0] neg_lo:[0,0,1] neg_hi:[0,0,1]
	v_mov_b32_e32 v150, v148
	v_mov_b32_e32 v151, v147
	v_pk_add_f32 v[128:129], v[150:151], v[128:129]
	v_pk_mul_f32 v[150:151], v[76:77], s[20:21] op_sel_hi:[1,0]
	v_pk_mul_f32 v[76:77], v[76:77], s[26:27] op_sel_hi:[1,0]
	v_pk_fma_f32 v[152:153], v[72:73], s[18:19], v[150:151] op_sel:[0,0,1] op_sel_hi:[1,0,0]
	v_pk_fma_f32 v[150:151], v[72:73], s[18:19], v[150:151] op_sel:[0,0,1] op_sel_hi:[1,0,0] neg_lo:[0,0,1] neg_hi:[0,0,1]
	v_mov_b32_e32 v154, v152
	v_mov_b32_e32 v155, v151
	v_pk_add_f32 v[154:155], v[154:155], v[0:1]
	v_mov_b32_e32 v151, v153
	v_pk_add_f32 v[154:155], v[160:161], v[154:155]
	v_pk_mul_f32 v[160:161], v[88:89], s[22:23] op_sel_hi:[1,0]
	v_pk_mul_f32 v[88:89], v[88:89], s[20:21] op_sel_hi:[1,0]
	v_pk_fma_f32 v[162:163], v[86:87], s[10:11], v[160:161] op_sel:[0,0,1] op_sel_hi:[1,0,0]
	v_pk_fma_f32 v[160:161], v[86:87], s[10:11], v[160:161] op_sel:[0,0,1] op_sel_hi:[1,0,0] neg_lo:[0,0,1] neg_hi:[0,0,1]
	v_mov_b32_e32 v164, v162
	v_mov_b32_e32 v165, v161
	v_pk_add_f32 v[154:155], v[164:165], v[154:155]
	v_pk_mul_f32 v[164:165], v[74:75], s[30:31] op_sel_hi:[1,0]
	v_pk_mul_f32 v[74:75], v[74:75], s[36:37] op_sel_hi:[1,0]
	v_pk_fma_f32 v[166:167], v[90:91], s[24:25], v[164:165] op_sel:[0,0,1] op_sel_hi:[1,0,0]
	v_pk_fma_f32 v[164:165], v[90:91], s[24:25], v[164:165] op_sel:[0,0,1] op_sel_hi:[1,0,0] neg_lo:[0,0,1] neg_hi:[0,0,1]
	v_mov_b32_e32 v168, v166
	v_mov_b32_e32 v169, v165
	v_pk_add_f32 v[154:155], v[168:169], v[154:155]
	v_pk_mul_f32 v[168:169], v[70:71], s[34:35] op_sel_hi:[1,0]
	v_pk_mul_f32 v[70:71], v[70:71], s[16:17] op_sel_hi:[1,0]
	v_pk_fma_f32 v[170:171], v[80:81], s[2:3], v[168:169] op_sel:[0,0,1] op_sel_hi:[1,0,0]
	v_pk_fma_f32 v[168:169], v[80:81], s[2:3], v[168:169] op_sel:[0,0,1] op_sel_hi:[1,0,0] neg_lo:[0,0,1] neg_hi:[0,0,1]
	v_mov_b32_e32 v172, v170
	v_mov_b32_e32 v173, v169
	v_pk_add_f32 v[154:155], v[172:173], v[154:155]
	v_pk_mul_f32 v[172:173], v[78:79], s[16:17] op_sel_hi:[1,0]
	v_pk_mul_f32 v[78:79], v[78:79], s[28:29] op_sel_hi:[1,0]
	v_pk_fma_f32 v[174:175], v[92:93], s[14:15], v[172:173] op_sel:[0,0,1] op_sel_hi:[1,0,0]
	v_pk_fma_f32 v[172:173], v[92:93], s[14:15], v[172:173] op_sel:[0,0,1] op_sel_hi:[1,0,0] neg_lo:[0,0,1] neg_hi:[0,0,1]
	v_mov_b32_e32 v176, v174
	v_mov_b32_e32 v177, v173
	v_pk_add_f32 v[154:155], v[176:177], v[154:155]
	ds_write2_b64 v19, v[128:129], v[154:155] offset0:104 offset1:130
	v_pk_fma_f32 v[128:129], v[72:73], s[24:25], v[76:77] op_sel:[0,0,1] op_sel_hi:[1,0,0]
	v_pk_fma_f32 v[72:73], v[72:73], s[24:25], v[76:77] op_sel:[0,0,1] op_sel_hi:[1,0,0] neg_lo:[0,0,1] neg_hi:[0,0,1]
	v_pk_mul_f32 v[76:77], v[82:83], s[34:35] op_sel_hi:[1,0]
	v_mov_b32_e32 v95, v107
	v_pk_fma_f32 v[82:83], v[84:85], s[2:3], v[76:77] op_sel:[0,0,1] op_sel_hi:[1,0,0]
	v_pk_fma_f32 v[76:77], v[84:85], s[2:3], v[76:77] op_sel:[0,0,1] op_sel_hi:[1,0,0] neg_lo:[0,0,1] neg_hi:[0,0,1]
	v_mov_b32_e32 v84, v128
	v_mov_b32_e32 v85, v73
	v_pk_add_f32 v[84:85], v[84:85], v[0:1]
	v_mov_b32_e32 v154, v82
	v_mov_b32_e32 v155, v77
	v_pk_add_f32 v[84:85], v[154:155], v[84:85]
	v_pk_fma_f32 v[154:155], v[86:87], s[18:19], v[88:89] op_sel:[0,0,1] op_sel_hi:[1,0,0]
	v_pk_fma_f32 v[86:87], v[86:87], s[18:19], v[88:89] op_sel:[0,0,1] op_sel_hi:[1,0,0] neg_lo:[0,0,1] neg_hi:[0,0,1]
	v_mov_b32_e32 v88, v154
	v_mov_b32_e32 v89, v87
	v_pk_add_f32 v[84:85], v[88:89], v[84:85]
	v_pk_fma_f32 v[88:89], v[90:91], s[10:11], v[74:75] op_sel:[0,0,1] op_sel_hi:[1,0,0]
	v_pk_fma_f32 v[74:75], v[90:91], s[10:11], v[74:75] op_sel:[0,0,1] op_sel_hi:[1,0,0] neg_lo:[0,0,1] neg_hi:[0,0,1]
	v_mov_b32_e32 v73, v129
	v_mov_b32_e32 v90, v88
	v_mov_b32_e32 v91, v75
	v_mov_b32_e32 v77, v83
	v_pk_add_f32 v[72:73], v[72:73], v[0:1]
	v_pk_add_f32 v[84:85], v[90:91], v[84:85]
	v_pk_fma_f32 v[90:91], v[80:81], s[14:15], v[70:71] op_sel:[0,0,1] op_sel_hi:[1,0,0]
	v_pk_fma_f32 v[70:71], v[80:81], s[14:15], v[70:71] op_sel:[0,0,1] op_sel_hi:[1,0,0] neg_lo:[0,0,1] neg_hi:[0,0,1]
	v_pk_add_f32 v[72:73], v[76:77], v[72:73]
	v_mov_b32_e32 v87, v155
	v_mov_b32_e32 v80, v90
	;; [unrolled: 1-line block ×3, first 2 shown]
	v_pk_add_f32 v[72:73], v[86:87], v[72:73]
	v_mov_b32_e32 v75, v89
	v_pk_add_f32 v[80:81], v[80:81], v[84:85]
	v_pk_fma_f32 v[84:85], v[92:93], s[12:13], v[78:79] op_sel:[0,0,1] op_sel_hi:[1,0,0]
	v_pk_fma_f32 v[78:79], v[92:93], s[12:13], v[78:79] op_sel:[0,0,1] op_sel_hi:[1,0,0] neg_lo:[0,0,1] neg_hi:[0,0,1]
	v_pk_add_f32 v[72:73], v[74:75], v[72:73]
	v_mov_b32_e32 v71, v91
	v_mov_b32_e32 v92, v84
	;; [unrolled: 1-line block ×3, first 2 shown]
	v_pk_add_f32 v[70:71], v[70:71], v[72:73]
	v_mov_b32_e32 v79, v85
	v_pk_add_f32 v[80:81], v[92:93], v[80:81]
	v_pk_add_f32 v[70:71], v[78:79], v[70:71]
	ds_write2_b64 v19, v[80:81], v[70:71] offset0:156 offset1:182
	v_mov_b32_e32 v157, v159
	v_pk_add_f32 v[70:71], v[150:151], v[0:1]
	v_pk_add_f32 v[72:73], v[94:95], v[0:1]
	v_mov_b32_e32 v131, v133
	v_pk_add_f32 v[70:71], v[156:157], v[70:71]
	v_mov_b32_e32 v161, v163
	;; [unrolled: 2-line block ×9, first 2 shown]
	v_pk_add_f32 v[70:71], v[172:173], v[70:71]
	v_pk_add_f32 v[72:73], v[146:147], v[72:73]
	v_mov_b32_e32 v101, v103
	v_mov_b32_e32 v47, v45
	v_mov_b32_e32 v5, v3
	ds_write2_b64 v19, v[70:71], v[72:73] offset0:208 offset1:234
	v_pk_add_f32 v[70:71], v[100:101], v[0:1]
	v_mov_b32_e32 v109, v111
	v_pk_add_f32 v[44:45], v[46:47], v[0:1]
	v_mov_b32_e32 v51, v49
	;; [unrolled: 2-line block ×15, first 2 shown]
	v_pk_add_f32 v[70:71], v[124:125], v[70:71]
	v_pk_add_f32 v[44:45], v[96:97], v[44:45]
	;; [unrolled: 1-line block ×3, first 2 shown]
	ds_write2_b64 v23, v[70:71], v[44:45] offset0:4 offset1:30
	ds_write_b64 v19, v[0:1] offset:2496
	s_waitcnt lgkmcnt(0)
	; wave barrier
	s_waitcnt lgkmcnt(0)
	ds_read_b64 v[4:5], v21
	v_sub_u32_e32 v6, v104, v17
	v_cmp_ne_u32_e64 s[2:3], 0, v16
                                        ; implicit-def: $vgpr2_vgpr3
                                        ; implicit-def: $vgpr1
	s_and_saveexec_b64 s[10:11], s[2:3]
	s_xor_b64 s[2:3], exec, s[10:11]
	s_cbranch_execz .LBB0_19
; %bb.18:
	v_mov_b32_e32 v17, 0
	v_lshl_add_u64 v[0:1], v[16:17], 3, s[8:9]
	global_load_dwordx2 v[2:3], v[0:1], off offset:2600
	ds_read_b64 v[0:1], v6 offset:2704
	v_mov_b32_e32 v9, 0.5
	v_mov_b32_e32 v10, v9
	s_waitcnt lgkmcnt(0)
	v_pk_add_f32 v[30:31], v[0:1], v[4:5]
	v_pk_add_f32 v[0:1], v[4:5], v[0:1] neg_lo:[0,1] neg_hi:[0,1]
	v_mov_b32_e32 v4, v31
	v_mov_b32_e32 v5, v0
	v_pk_mul_f32 v[4:5], v[4:5], 0.5 op_sel_hi:[1,0]
	s_waitcnt vmcnt(0)
	v_mov_b32_e32 v8, v3
	v_mov_b32_e32 v0, v5
	;; [unrolled: 1-line block ×4, first 2 shown]
	v_pk_mul_f32 v[0:1], v[8:9], v[0:1]
	v_pk_mul_f32 v[32:33], v[2:3], v[4:5] op_sel_hi:[0,1]
	v_pk_fma_f32 v[8:9], v[30:31], v[10:11], v[0:1]
	v_pk_fma_f32 v[10:11], v[30:31], v[10:11], v[0:1] neg_lo:[0,0,1] neg_hi:[0,0,1]
	v_add_f32_e32 v0, v32, v8
	v_sub_f32_e32 v1, v9, v33
	ds_write_b32 v21, v0
	v_pk_fma_f32 v[2:3], v[2:3], v[4:5], v[10:11] op_sel_hi:[0,1,1] neg_lo:[1,0,0] neg_hi:[1,0,0]
                                        ; implicit-def: $vgpr4_vgpr5
.LBB0_19:
	s_andn2_saveexec_b64 s[2:3], s[2:3]
	s_cbranch_execz .LBB0_21
; %bb.20:
	ds_read_b32 v2, v104 offset:1356
	s_waitcnt lgkmcnt(1)
	v_mov_b32_e32 v0, v5
	v_add_f32_e32 v1, v5, v4
	ds_write_b32 v21, v1
	v_pk_add_f32 v[0:1], v[4:5], v[0:1] neg_lo:[0,1] neg_hi:[0,1]
	s_waitcnt lgkmcnt(1)
	v_xor_b32_e32 v1, 0x80000000, v2
	ds_write_b32 v104, v1 offset:1356
	v_mov_b32_e32 v1, 0
	v_mov_b64_e32 v[2:3], v[0:1]
.LBB0_21:
	s_or_b64 exec, exec, s[2:3]
	v_mov_b32_e32 v19, 0
	s_waitcnt lgkmcnt(0)
	v_lshl_add_u64 v[4:5], v[18:19], 3, s[8:9]
	global_load_dwordx2 v[4:5], v[4:5], off offset:2600
	v_mov_b32_e32 v29, v19
	v_lshl_add_u64 v[8:9], v[28:29], 3, s[8:9]
	global_load_dwordx2 v[8:9], v[8:9], off offset:2600
	v_mov_b32_e32 v27, v19
	;; [unrolled: 3-line block ×4, first 2 shown]
	ds_write_b32 v21, v1 offset:4
	ds_write_b64 v6, v[2:3] offset:2704
	v_lshl_add_u64 v[22:23], v[22:23], 3, s[8:9]
	ds_read_b64 v[2:3], v68
	ds_read_b64 v[26:27], v6 offset:2496
	global_load_dwordx2 v[22:23], v[22:23], off offset:2600
	v_mov_b32_e32 v1, 0.5
	v_mov_b32_e32 v28, v1
	s_waitcnt lgkmcnt(0)
	v_pk_add_f32 v[30:31], v[2:3], v[26:27]
	v_pk_add_f32 v[2:3], v[2:3], v[26:27] neg_lo:[0,1] neg_hi:[0,1]
	v_mov_b32_e32 v26, v31
	v_mov_b32_e32 v27, v2
	v_pk_mul_f32 v[26:27], v[26:27], 0.5 op_sel_hi:[1,0]
	s_waitcnt vmcnt(4)
	v_mov_b32_e32 v0, v5
	v_mov_b32_e32 v2, v27
	;; [unrolled: 1-line block ×4, first 2 shown]
	v_pk_mul_f32 v[2:3], v[0:1], v[2:3]
	s_waitcnt vmcnt(3)
	v_mov_b32_e32 v0, v9
	v_pk_fma_f32 v[32:33], v[30:31], v[28:29], v[2:3]
	v_pk_fma_f32 v[2:3], v[30:31], v[28:29], v[2:3] neg_lo:[0,0,1] neg_hi:[0,0,1]
	v_pk_fma_f32 v[28:29], v[4:5], v[26:27], v[32:33]
	v_pk_fma_f32 v[30:31], v[4:5], v[26:27], v[32:33] op_sel_hi:[0,1,1] neg_lo:[1,0,0] neg_hi:[1,0,0]
	v_mov_b32_e32 v29, v31
	v_pk_fma_f32 v[2:3], v[4:5], v[26:27], v[2:3] op_sel_hi:[0,1,1] neg_lo:[1,0,0] neg_hi:[1,0,0]
	ds_write_b64 v68, v[28:29]
	ds_write_b64 v6, v[2:3] offset:2496
	ds_read_b64 v[2:3], v67
	ds_read_b64 v[4:5], v6 offset:2288
	v_mov_b32_e32 v26, v1
	v_mov_b32_e32 v27, v9
	s_waitcnt lgkmcnt(0)
	v_pk_add_f32 v[28:29], v[2:3], v[4:5]
	v_pk_add_f32 v[2:3], v[2:3], v[4:5] neg_lo:[0,1] neg_hi:[0,1]
	v_mov_b32_e32 v4, v29
	v_mov_b32_e32 v5, v2
	v_pk_mul_f32 v[4:5], v[4:5], 0.5 op_sel_hi:[1,0]
	s_nop 0
	v_mov_b32_e32 v2, v5
	v_mov_b32_e32 v29, v4
	v_pk_mul_f32 v[2:3], v[0:1], v[2:3]
	s_waitcnt vmcnt(2)
	v_mov_b32_e32 v0, v11
	v_pk_fma_f32 v[30:31], v[28:29], v[26:27], v[2:3]
	v_pk_fma_f32 v[2:3], v[28:29], v[26:27], v[2:3] neg_lo:[0,0,1] neg_hi:[0,0,1]
	v_pk_fma_f32 v[26:27], v[8:9], v[4:5], v[30:31]
	v_pk_fma_f32 v[28:29], v[8:9], v[4:5], v[30:31] op_sel_hi:[0,1,1] neg_lo:[1,0,0] neg_hi:[1,0,0]
	v_mov_b32_e32 v27, v29
	v_pk_fma_f32 v[2:3], v[8:9], v[4:5], v[2:3] op_sel_hi:[0,1,1] neg_lo:[1,0,0] neg_hi:[1,0,0]
	ds_write_b64 v67, v[26:27]
	ds_write_b64 v6, v[2:3] offset:2288
	ds_read_b64 v[2:3], v66
	ds_read_b64 v[4:5], v6 offset:2080
	v_mov_b32_e32 v8, v1
	v_mov_b32_e32 v9, v11
	s_waitcnt lgkmcnt(0)
	v_pk_add_f32 v[26:27], v[2:3], v[4:5]
	v_pk_add_f32 v[2:3], v[2:3], v[4:5] neg_lo:[0,1] neg_hi:[0,1]
	v_mov_b32_e32 v4, v27
	v_mov_b32_e32 v5, v2
	v_pk_mul_f32 v[4:5], v[4:5], 0.5 op_sel_hi:[1,0]
	s_nop 0
	v_mov_b32_e32 v2, v5
	v_mov_b32_e32 v27, v4
	;; [unrolled: 24-line block ×4, first 2 shown]
	v_pk_mul_f32 v[2:3], v[0:1], v[2:3]
	s_nop 0
	v_pk_fma_f32 v[24:25], v[10:11], v[8:9], v[2:3]
	v_pk_fma_f32 v[2:3], v[10:11], v[8:9], v[2:3] neg_lo:[0,0,1] neg_hi:[0,0,1]
	v_pk_fma_f32 v[8:9], v[22:23], v[4:5], v[24:25]
	v_pk_fma_f32 v[10:11], v[22:23], v[4:5], v[24:25] op_sel_hi:[0,1,1] neg_lo:[1,0,0] neg_hi:[1,0,0]
	v_mov_b32_e32 v9, v11
	v_pk_fma_f32 v[2:3], v[22:23], v[4:5], v[2:3] op_sel_hi:[0,1,1] neg_lo:[1,0,0] neg_hi:[1,0,0]
	ds_write_b64 v64, v[8:9]
	ds_write_b64 v6, v[2:3] offset:1664
	s_and_saveexec_b64 s[2:3], s[0:1]
	s_cbranch_execz .LBB0_23
; %bb.22:
	v_mov_b32_e32 v21, v19
	v_lshl_add_u64 v[2:3], v[20:21], 3, s[8:9]
	global_load_dwordx2 v[2:3], v[2:3], off offset:2600
	v_lshl_add_u32 v7, v20, 3, v104
	ds_read_b64 v[4:5], v7
	ds_read_b64 v[8:9], v6 offset:1456
	v_mov_b32_e32 v10, v1
	s_waitcnt lgkmcnt(0)
	v_pk_add_f32 v[18:19], v[4:5], v[8:9]
	v_pk_add_f32 v[4:5], v[4:5], v[8:9] neg_lo:[0,1] neg_hi:[0,1]
	v_mov_b32_e32 v8, v19
	v_mov_b32_e32 v9, v4
	v_pk_mul_f32 v[8:9], v[8:9], 0.5 op_sel_hi:[1,0]
	s_waitcnt vmcnt(0)
	v_mov_b32_e32 v0, v3
	v_mov_b32_e32 v4, v9
	;; [unrolled: 1-line block ×4, first 2 shown]
	v_pk_mul_f32 v[0:1], v[0:1], v[4:5]
	s_nop 0
	v_pk_fma_f32 v[4:5], v[18:19], v[10:11], v[0:1]
	v_pk_fma_f32 v[0:1], v[18:19], v[10:11], v[0:1] neg_lo:[0,0,1] neg_hi:[0,0,1]
	v_pk_fma_f32 v[10:11], v[2:3], v[8:9], v[4:5]
	v_pk_fma_f32 v[4:5], v[2:3], v[8:9], v[4:5] op_sel_hi:[0,1,1] neg_lo:[1,0,0] neg_hi:[1,0,0]
	v_mov_b32_e32 v11, v5
	v_pk_fma_f32 v[0:1], v[2:3], v[8:9], v[0:1] op_sel_hi:[0,1,1] neg_lo:[1,0,0] neg_hi:[1,0,0]
	ds_write_b64 v7, v[10:11]
	ds_write_b64 v6, v[0:1] offset:1456
.LBB0_23:
	s_or_b64 exec, exec, s[2:3]
	s_waitcnt lgkmcnt(0)
	; wave barrier
	s_waitcnt lgkmcnt(0)
	s_and_saveexec_b64 s[0:1], vcc
	s_cbranch_execz .LBB0_26
; %bb.24:
	v_mul_lo_u32 v2, s5, v14
	v_mul_lo_u32 v3, s4, v15
	v_mad_u64_u32 v[0:1], s[0:1], s4, v14, 0
	v_add3_u32 v1, v1, v3, v2
	v_lshl_add_u32 v2, v16, 3, v104
	ds_read2_b64 v[4:7], v2 offset1:26
	v_lshl_add_u64 v[0:1], v[0:1], 3, s[6:7]
	v_mov_b32_e32 v17, 0
	v_lshl_add_u64 v[0:1], v[12:13], 3, v[0:1]
	v_lshl_add_u64 v[8:9], v[16:17], 3, v[0:1]
	s_waitcnt lgkmcnt(0)
	global_store_dwordx2 v[8:9], v[4:5], off
	ds_read2_b64 v[8:11], v2 offset0:52 offset1:78
	v_add_u32_e32 v4, 26, v16
	v_mov_b32_e32 v5, v17
	v_lshl_add_u64 v[4:5], v[4:5], 3, v[0:1]
	global_store_dwordx2 v[4:5], v[6:7], off
	v_add_u32_e32 v4, 52, v16
	v_mov_b32_e32 v5, v17
	v_lshl_add_u64 v[4:5], v[4:5], 3, v[0:1]
	s_waitcnt lgkmcnt(0)
	global_store_dwordx2 v[4:5], v[8:9], off
	v_add_u32_e32 v4, 0x4e, v16
	v_mov_b32_e32 v5, v17
	v_lshl_add_u64 v[8:9], v[4:5], 3, v[0:1]
	ds_read2_b64 v[4:7], v2 offset0:104 offset1:130
	global_store_dwordx2 v[8:9], v[10:11], off
	v_add_u32_e32 v8, 0x68, v16
	v_mov_b32_e32 v9, v17
	v_lshl_add_u64 v[8:9], v[8:9], 3, v[0:1]
	s_waitcnt lgkmcnt(0)
	global_store_dwordx2 v[8:9], v[4:5], off
	ds_read2_b64 v[8:11], v2 offset0:156 offset1:182
	v_add_u32_e32 v4, 0x82, v16
	v_mov_b32_e32 v5, v17
	v_lshl_add_u64 v[4:5], v[4:5], 3, v[0:1]
	global_store_dwordx2 v[4:5], v[6:7], off
	v_add_u32_e32 v4, 0x9c, v16
	v_mov_b32_e32 v5, v17
	v_lshl_add_u64 v[4:5], v[4:5], 3, v[0:1]
	s_waitcnt lgkmcnt(0)
	global_store_dwordx2 v[4:5], v[8:9], off
	v_add_u32_e32 v4, 0xb6, v16
	v_mov_b32_e32 v5, v17
	v_lshl_add_u64 v[8:9], v[4:5], 3, v[0:1]
	ds_read2_b64 v[4:7], v2 offset0:208 offset1:234
	global_store_dwordx2 v[8:9], v[10:11], off
	v_add_u32_e32 v8, 0xd0, v16
	v_mov_b32_e32 v9, v17
	v_lshl_add_u64 v[8:9], v[8:9], 3, v[0:1]
	v_add_u32_e32 v3, 0x800, v2
	s_waitcnt lgkmcnt(0)
	global_store_dwordx2 v[8:9], v[4:5], off
	ds_read2_b64 v[8:11], v3 offset0:4 offset1:30
	v_add_u32_e32 v4, 0xea, v16
	v_mov_b32_e32 v5, v17
	v_lshl_add_u64 v[4:5], v[4:5], 3, v[0:1]
	global_store_dwordx2 v[4:5], v[6:7], off
	v_add_u32_e32 v4, 0x104, v16
	v_mov_b32_e32 v5, v17
	v_lshl_add_u64 v[4:5], v[4:5], 3, v[0:1]
	ds_read_b64 v[6:7], v2 offset:2496
	s_waitcnt lgkmcnt(1)
	global_store_dwordx2 v[4:5], v[8:9], off
	v_add_u32_e32 v4, 0x11e, v16
	v_mov_b32_e32 v5, v17
	v_lshl_add_u64 v[4:5], v[4:5], 3, v[0:1]
	global_store_dwordx2 v[4:5], v[10:11], off
	v_add_u32_e32 v4, 0x138, v16
	v_mov_b32_e32 v5, v17
	v_lshl_add_u64 v[4:5], v[4:5], 3, v[0:1]
	v_cmp_eq_u32_e32 vcc, 25, v16
	s_waitcnt lgkmcnt(0)
	global_store_dwordx2 v[4:5], v[6:7], off
	s_and_b64 exec, exec, vcc
	s_cbranch_execz .LBB0_26
; %bb.25:
	ds_read_b64 v[2:3], v2 offset:2504
	s_waitcnt lgkmcnt(0)
	global_store_dwordx2 v[0:1], v[2:3], off offset:2704
.LBB0_26:
	s_endpgm
	.section	.rodata,"a",@progbits
	.p2align	6, 0x0
	.amdhsa_kernel fft_rtc_back_len338_factors_13_2_13_wgs_52_tpt_26_halfLds_sp_op_CI_CI_unitstride_sbrr_R2C_dirReg
		.amdhsa_group_segment_fixed_size 0
		.amdhsa_private_segment_fixed_size 0
		.amdhsa_kernarg_size 104
		.amdhsa_user_sgpr_count 2
		.amdhsa_user_sgpr_dispatch_ptr 0
		.amdhsa_user_sgpr_queue_ptr 0
		.amdhsa_user_sgpr_kernarg_segment_ptr 1
		.amdhsa_user_sgpr_dispatch_id 0
		.amdhsa_user_sgpr_kernarg_preload_length 0
		.amdhsa_user_sgpr_kernarg_preload_offset 0
		.amdhsa_user_sgpr_private_segment_size 0
		.amdhsa_uses_dynamic_stack 0
		.amdhsa_enable_private_segment 0
		.amdhsa_system_sgpr_workgroup_id_x 1
		.amdhsa_system_sgpr_workgroup_id_y 0
		.amdhsa_system_sgpr_workgroup_id_z 0
		.amdhsa_system_sgpr_workgroup_info 0
		.amdhsa_system_vgpr_workitem_id 0
		.amdhsa_next_free_vgpr 178
		.amdhsa_next_free_sgpr 40
		.amdhsa_accum_offset 180
		.amdhsa_reserve_vcc 1
		.amdhsa_float_round_mode_32 0
		.amdhsa_float_round_mode_16_64 0
		.amdhsa_float_denorm_mode_32 3
		.amdhsa_float_denorm_mode_16_64 3
		.amdhsa_dx10_clamp 1
		.amdhsa_ieee_mode 1
		.amdhsa_fp16_overflow 0
		.amdhsa_tg_split 0
		.amdhsa_exception_fp_ieee_invalid_op 0
		.amdhsa_exception_fp_denorm_src 0
		.amdhsa_exception_fp_ieee_div_zero 0
		.amdhsa_exception_fp_ieee_overflow 0
		.amdhsa_exception_fp_ieee_underflow 0
		.amdhsa_exception_fp_ieee_inexact 0
		.amdhsa_exception_int_div_zero 0
	.end_amdhsa_kernel
	.text
.Lfunc_end0:
	.size	fft_rtc_back_len338_factors_13_2_13_wgs_52_tpt_26_halfLds_sp_op_CI_CI_unitstride_sbrr_R2C_dirReg, .Lfunc_end0-fft_rtc_back_len338_factors_13_2_13_wgs_52_tpt_26_halfLds_sp_op_CI_CI_unitstride_sbrr_R2C_dirReg
                                        ; -- End function
	.section	.AMDGPU.csdata,"",@progbits
; Kernel info:
; codeLenInByte = 9876
; NumSgprs: 46
; NumVgprs: 178
; NumAgprs: 0
; TotalNumVgprs: 178
; ScratchSize: 0
; MemoryBound: 0
; FloatMode: 240
; IeeeMode: 1
; LDSByteSize: 0 bytes/workgroup (compile time only)
; SGPRBlocks: 5
; VGPRBlocks: 22
; NumSGPRsForWavesPerEU: 46
; NumVGPRsForWavesPerEU: 178
; AccumOffset: 180
; Occupancy: 2
; WaveLimiterHint : 1
; COMPUTE_PGM_RSRC2:SCRATCH_EN: 0
; COMPUTE_PGM_RSRC2:USER_SGPR: 2
; COMPUTE_PGM_RSRC2:TRAP_HANDLER: 0
; COMPUTE_PGM_RSRC2:TGID_X_EN: 1
; COMPUTE_PGM_RSRC2:TGID_Y_EN: 0
; COMPUTE_PGM_RSRC2:TGID_Z_EN: 0
; COMPUTE_PGM_RSRC2:TIDIG_COMP_CNT: 0
; COMPUTE_PGM_RSRC3_GFX90A:ACCUM_OFFSET: 44
; COMPUTE_PGM_RSRC3_GFX90A:TG_SPLIT: 0
	.text
	.p2alignl 6, 3212836864
	.fill 256, 4, 3212836864
	.type	__hip_cuid_57c1d3bb80537693,@object ; @__hip_cuid_57c1d3bb80537693
	.section	.bss,"aw",@nobits
	.globl	__hip_cuid_57c1d3bb80537693
__hip_cuid_57c1d3bb80537693:
	.byte	0                               ; 0x0
	.size	__hip_cuid_57c1d3bb80537693, 1

	.ident	"AMD clang version 19.0.0git (https://github.com/RadeonOpenCompute/llvm-project roc-6.4.0 25133 c7fe45cf4b819c5991fe208aaa96edf142730f1d)"
	.section	".note.GNU-stack","",@progbits
	.addrsig
	.addrsig_sym __hip_cuid_57c1d3bb80537693
	.amdgpu_metadata
---
amdhsa.kernels:
  - .agpr_count:     0
    .args:
      - .actual_access:  read_only
        .address_space:  global
        .offset:         0
        .size:           8
        .value_kind:     global_buffer
      - .offset:         8
        .size:           8
        .value_kind:     by_value
      - .actual_access:  read_only
        .address_space:  global
        .offset:         16
        .size:           8
        .value_kind:     global_buffer
      - .actual_access:  read_only
        .address_space:  global
        .offset:         24
        .size:           8
        .value_kind:     global_buffer
      - .actual_access:  read_only
        .address_space:  global
        .offset:         32
        .size:           8
        .value_kind:     global_buffer
      - .offset:         40
        .size:           8
        .value_kind:     by_value
      - .actual_access:  read_only
        .address_space:  global
        .offset:         48
        .size:           8
        .value_kind:     global_buffer
      - .actual_access:  read_only
        .address_space:  global
        .offset:         56
        .size:           8
        .value_kind:     global_buffer
      - .offset:         64
        .size:           4
        .value_kind:     by_value
      - .actual_access:  read_only
        .address_space:  global
        .offset:         72
        .size:           8
        .value_kind:     global_buffer
      - .actual_access:  read_only
        .address_space:  global
        .offset:         80
        .size:           8
        .value_kind:     global_buffer
      - .actual_access:  read_only
        .address_space:  global
        .offset:         88
        .size:           8
        .value_kind:     global_buffer
      - .actual_access:  write_only
        .address_space:  global
        .offset:         96
        .size:           8
        .value_kind:     global_buffer
    .group_segment_fixed_size: 0
    .kernarg_segment_align: 8
    .kernarg_segment_size: 104
    .language:       OpenCL C
    .language_version:
      - 2
      - 0
    .max_flat_workgroup_size: 52
    .name:           fft_rtc_back_len338_factors_13_2_13_wgs_52_tpt_26_halfLds_sp_op_CI_CI_unitstride_sbrr_R2C_dirReg
    .private_segment_fixed_size: 0
    .sgpr_count:     46
    .sgpr_spill_count: 0
    .symbol:         fft_rtc_back_len338_factors_13_2_13_wgs_52_tpt_26_halfLds_sp_op_CI_CI_unitstride_sbrr_R2C_dirReg.kd
    .uniform_work_group_size: 1
    .uses_dynamic_stack: false
    .vgpr_count:     178
    .vgpr_spill_count: 0
    .wavefront_size: 64
amdhsa.target:   amdgcn-amd-amdhsa--gfx950
amdhsa.version:
  - 1
  - 2
...

	.end_amdgpu_metadata
